;; amdgpu-corpus repo=ROCm/rocSOLVER kind=compiled arch=gfx1030 opt=O3
	.amdgcn_target "amdgcn-amd-amdhsa--gfx1030"
	.amdhsa_code_object_version 6
	.section	.text._ZN9rocsolver6v33100L10reset_infoIiiiEEvPT_T0_T1_S4_,"axG",@progbits,_ZN9rocsolver6v33100L10reset_infoIiiiEEvPT_T0_T1_S4_,comdat
	.globl	_ZN9rocsolver6v33100L10reset_infoIiiiEEvPT_T0_T1_S4_ ; -- Begin function _ZN9rocsolver6v33100L10reset_infoIiiiEEvPT_T0_T1_S4_
	.p2align	8
	.type	_ZN9rocsolver6v33100L10reset_infoIiiiEEvPT_T0_T1_S4_,@function
_ZN9rocsolver6v33100L10reset_infoIiiiEEvPT_T0_T1_S4_: ; @_ZN9rocsolver6v33100L10reset_infoIiiiEEvPT_T0_T1_S4_
; %bb.0:
	s_clause 0x1
	s_load_dword s7, s[4:5], 0x24
	s_load_dwordx4 s[0:3], s[4:5], 0x8
	s_waitcnt lgkmcnt(0)
	s_and_b32 s3, s7, 0xffff
	v_mad_u64_u32 v[0:1], null, s6, s3, v[0:1]
	v_cmp_gt_i32_e32 vcc_lo, s0, v0
	s_and_saveexec_b32 s0, vcc_lo
	s_cbranch_execz .LBB0_2
; %bb.1:
	s_load_dwordx2 s[4:5], s[4:5], 0x0
	v_ashrrev_i32_e32 v1, 31, v0
	s_mov_b32 s0, s1
	v_mad_u64_u32 v[3:4], null, v0, s2, s[0:1]
	v_lshlrev_b64 v[1:2], 2, v[0:1]
	s_waitcnt lgkmcnt(0)
	v_add_co_u32 v0, vcc_lo, s4, v1
	v_add_co_ci_u32_e64 v1, null, s5, v2, vcc_lo
	global_store_dword v[0:1], v3, off
.LBB0_2:
	s_endpgm
	.section	.rodata,"a",@progbits
	.p2align	6, 0x0
	.amdhsa_kernel _ZN9rocsolver6v33100L10reset_infoIiiiEEvPT_T0_T1_S4_
		.amdhsa_group_segment_fixed_size 0
		.amdhsa_private_segment_fixed_size 0
		.amdhsa_kernarg_size 280
		.amdhsa_user_sgpr_count 6
		.amdhsa_user_sgpr_private_segment_buffer 1
		.amdhsa_user_sgpr_dispatch_ptr 0
		.amdhsa_user_sgpr_queue_ptr 0
		.amdhsa_user_sgpr_kernarg_segment_ptr 1
		.amdhsa_user_sgpr_dispatch_id 0
		.amdhsa_user_sgpr_flat_scratch_init 0
		.amdhsa_user_sgpr_private_segment_size 0
		.amdhsa_wavefront_size32 1
		.amdhsa_uses_dynamic_stack 0
		.amdhsa_system_sgpr_private_segment_wavefront_offset 0
		.amdhsa_system_sgpr_workgroup_id_x 1
		.amdhsa_system_sgpr_workgroup_id_y 0
		.amdhsa_system_sgpr_workgroup_id_z 0
		.amdhsa_system_sgpr_workgroup_info 0
		.amdhsa_system_vgpr_workitem_id 0
		.amdhsa_next_free_vgpr 5
		.amdhsa_next_free_sgpr 8
		.amdhsa_reserve_vcc 1
		.amdhsa_reserve_flat_scratch 0
		.amdhsa_float_round_mode_32 0
		.amdhsa_float_round_mode_16_64 0
		.amdhsa_float_denorm_mode_32 3
		.amdhsa_float_denorm_mode_16_64 3
		.amdhsa_dx10_clamp 1
		.amdhsa_ieee_mode 1
		.amdhsa_fp16_overflow 0
		.amdhsa_workgroup_processor_mode 1
		.amdhsa_memory_ordered 1
		.amdhsa_forward_progress 1
		.amdhsa_shared_vgpr_count 0
		.amdhsa_exception_fp_ieee_invalid_op 0
		.amdhsa_exception_fp_denorm_src 0
		.amdhsa_exception_fp_ieee_div_zero 0
		.amdhsa_exception_fp_ieee_overflow 0
		.amdhsa_exception_fp_ieee_underflow 0
		.amdhsa_exception_fp_ieee_inexact 0
		.amdhsa_exception_int_div_zero 0
	.end_amdhsa_kernel
	.section	.text._ZN9rocsolver6v33100L10reset_infoIiiiEEvPT_T0_T1_S4_,"axG",@progbits,_ZN9rocsolver6v33100L10reset_infoIiiiEEvPT_T0_T1_S4_,comdat
.Lfunc_end0:
	.size	_ZN9rocsolver6v33100L10reset_infoIiiiEEvPT_T0_T1_S4_, .Lfunc_end0-_ZN9rocsolver6v33100L10reset_infoIiiiEEvPT_T0_T1_S4_
                                        ; -- End function
	.set _ZN9rocsolver6v33100L10reset_infoIiiiEEvPT_T0_T1_S4_.num_vgpr, 5
	.set _ZN9rocsolver6v33100L10reset_infoIiiiEEvPT_T0_T1_S4_.num_agpr, 0
	.set _ZN9rocsolver6v33100L10reset_infoIiiiEEvPT_T0_T1_S4_.numbered_sgpr, 8
	.set _ZN9rocsolver6v33100L10reset_infoIiiiEEvPT_T0_T1_S4_.num_named_barrier, 0
	.set _ZN9rocsolver6v33100L10reset_infoIiiiEEvPT_T0_T1_S4_.private_seg_size, 0
	.set _ZN9rocsolver6v33100L10reset_infoIiiiEEvPT_T0_T1_S4_.uses_vcc, 1
	.set _ZN9rocsolver6v33100L10reset_infoIiiiEEvPT_T0_T1_S4_.uses_flat_scratch, 0
	.set _ZN9rocsolver6v33100L10reset_infoIiiiEEvPT_T0_T1_S4_.has_dyn_sized_stack, 0
	.set _ZN9rocsolver6v33100L10reset_infoIiiiEEvPT_T0_T1_S4_.has_recursion, 0
	.set _ZN9rocsolver6v33100L10reset_infoIiiiEEvPT_T0_T1_S4_.has_indirect_call, 0
	.section	.AMDGPU.csdata,"",@progbits
; Kernel info:
; codeLenInByte = 116
; TotalNumSgprs: 10
; NumVgprs: 5
; ScratchSize: 0
; MemoryBound: 0
; FloatMode: 240
; IeeeMode: 1
; LDSByteSize: 0 bytes/workgroup (compile time only)
; SGPRBlocks: 0
; VGPRBlocks: 0
; NumSGPRsForWavesPerEU: 10
; NumVGPRsForWavesPerEU: 5
; Occupancy: 16
; WaveLimiterHint : 0
; COMPUTE_PGM_RSRC2:SCRATCH_EN: 0
; COMPUTE_PGM_RSRC2:USER_SGPR: 6
; COMPUTE_PGM_RSRC2:TRAP_HANDLER: 0
; COMPUTE_PGM_RSRC2:TGID_X_EN: 1
; COMPUTE_PGM_RSRC2:TGID_Y_EN: 0
; COMPUTE_PGM_RSRC2:TGID_Z_EN: 0
; COMPUTE_PGM_RSRC2:TIDIG_COMP_CNT: 0
	.section	.text._ZN9rocsolver6v33100L18stebz_case1_kernelIfPfEEv15rocblas_erange_T_S4_T0_ilPiS6_PS4_lS6_lS6_li,"axG",@progbits,_ZN9rocsolver6v33100L18stebz_case1_kernelIfPfEEv15rocblas_erange_T_S4_T0_ilPiS6_PS4_lS6_lS6_li,comdat
	.globl	_ZN9rocsolver6v33100L18stebz_case1_kernelIfPfEEv15rocblas_erange_T_S4_T0_ilPiS6_PS4_lS6_lS6_li ; -- Begin function _ZN9rocsolver6v33100L18stebz_case1_kernelIfPfEEv15rocblas_erange_T_S4_T0_ilPiS6_PS4_lS6_lS6_li
	.p2align	8
	.type	_ZN9rocsolver6v33100L18stebz_case1_kernelIfPfEEv15rocblas_erange_T_S4_T0_ilPiS6_PS4_lS6_lS6_li,@function
_ZN9rocsolver6v33100L18stebz_case1_kernelIfPfEEv15rocblas_erange_T_S4_T0_ilPiS6_PS4_lS6_lS6_li: ; @_ZN9rocsolver6v33100L18stebz_case1_kernelIfPfEEv15rocblas_erange_T_S4_T0_ilPiS6_PS4_lS6_lS6_li
; %bb.0:
	s_clause 0x1
	s_load_dword s0, s[4:5], 0x7c
	s_load_dword s1, s[4:5], 0x68
	s_waitcnt lgkmcnt(0)
	s_and_b32 s0, s0, 0xffff
	v_mad_u64_u32 v[0:1], null, s6, s0, v[0:1]
	s_mov_b32 s0, exec_lo
	v_cmpx_gt_i32_e64 s1, v0
	s_cbranch_execz .LBB1_7
; %bb.1:
	s_load_dwordx16 s[8:23], s[4:5], 0x20
	v_ashrrev_i32_e32 v1, 31, v0
	s_clause 0x1
	s_load_dwordx2 s[0:1], s[4:5], 0x10
	s_load_dword s2, s[4:5], 0x18
	v_mov_b32_e32 v9, 1
	s_waitcnt lgkmcnt(0)
	v_mul_lo_u32 v4, s9, v0
	v_mul_lo_u32 v5, s8, v1
	v_mad_u64_u32 v[2:3], null, s8, v0, 0
	s_ashr_i32 s3, s2, 31
	v_add3_u32 v3, v3, v5, v4
	v_lshlrev_b64 v[2:3], 2, v[2:3]
	v_add_co_u32 v2, vcc_lo, s0, v2
	v_add_co_ci_u32_e64 v3, null, s1, v3, vcc_lo
	s_lshl_b64 s[0:1], s[2:3], 2
	v_add_co_u32 v2, vcc_lo, v2, s0
	v_add_co_ci_u32_e64 v3, null, s1, v3, vcc_lo
	s_load_dwordx2 s[0:1], s[4:5], 0x60
	global_load_dword v4, v[2:3], off
	s_waitcnt lgkmcnt(0)
	v_mul_lo_u32 v2, s1, v0
	v_mul_lo_u32 v3, s0, v1
	v_mad_u64_u32 v[5:6], null, s0, v0, 0
	s_load_dwordx4 s[0:3], s[4:5], 0x0
	v_add3_u32 v6, v6, v3, v2
	v_lshlrev_b64 v[2:3], 2, v[0:1]
	v_lshlrev_b64 v[5:6], 2, v[5:6]
	v_add_co_u32 v7, vcc_lo, s12, v2
	v_add_co_ci_u32_e64 v8, null, s13, v3, vcc_lo
	v_add_co_u32 v5, vcc_lo, s22, v5
	v_add_co_ci_u32_e64 v6, null, s23, v6, vcc_lo
	s_waitcnt lgkmcnt(0)
	s_cmpk_lg_i32 s0, 0xe8
	global_store_dword v[7:8], v9, off
	s_cselect_b32 s3, -1, 0
	global_store_dword v[5:6], v9, off
	s_and_b32 vcc_lo, exec_lo, s3
	s_cbranch_vccnz .LBB1_3
; %bb.2:
	s_waitcnt vmcnt(0)
	v_cmp_nge_f32_e32 vcc_lo, s1, v4
	v_cmp_nlt_f32_e64 s0, s2, v4
	s_andn2_b32 s1, s3, exec_lo
	s_and_b32 s0, vcc_lo, s0
	s_and_b32 s2, s0, exec_lo
	s_mov_b32 s0, -1
	s_or_b32 s3, s1, s2
	s_and_saveexec_b32 s1, s3
	s_xor_b32 s1, exec_lo, s1
	s_cbranch_execnz .LBB1_4
	s_branch .LBB1_5
.LBB1_3:
	s_mov_b32 s0, 0
	s_and_saveexec_b32 s1, s3
	s_xor_b32 s1, exec_lo, s1
	s_cbranch_execz .LBB1_5
.LBB1_4:
	v_mul_lo_u32 v7, s17, v0
	v_mul_lo_u32 v8, s16, v1
	v_mad_u64_u32 v[5:6], null, s16, v0, 0
	v_mul_lo_u32 v9, s21, v0
	v_mul_lo_u32 v10, s20, v1
	v_mad_u64_u32 v[0:1], null, s20, v0, 0
	s_andn2_b32 s0, s0, exec_lo
	v_add3_u32 v6, v6, v8, v7
	v_add_co_u32 v7, vcc_lo, s10, v2
	v_add_co_ci_u32_e64 v8, null, s11, v3, vcc_lo
	v_add3_u32 v1, v1, v10, v9
	v_lshlrev_b64 v[5:6], 2, v[5:6]
	v_mov_b32_e32 v9, 1
	v_lshlrev_b64 v[0:1], 2, v[0:1]
	v_add_co_u32 v5, vcc_lo, s14, v5
	v_add_co_ci_u32_e64 v6, null, s15, v6, vcc_lo
	v_add_co_u32 v0, vcc_lo, s18, v0
	v_add_co_ci_u32_e64 v1, null, s19, v1, vcc_lo
	global_store_dword v[7:8], v9, off
	s_waitcnt vmcnt(0)
	global_store_dword v[5:6], v4, off
	global_store_dword v[0:1], v9, off
.LBB1_5:
	s_or_b32 exec_lo, exec_lo, s1
	s_and_b32 exec_lo, exec_lo, s0
	s_cbranch_execz .LBB1_7
; %bb.6:
	v_add_co_u32 v0, vcc_lo, s10, v2
	v_add_co_ci_u32_e64 v1, null, s11, v3, vcc_lo
	v_mov_b32_e32 v2, 0
	global_store_dword v[0:1], v2, off
.LBB1_7:
	s_endpgm
	.section	.rodata,"a",@progbits
	.p2align	6, 0x0
	.amdhsa_kernel _ZN9rocsolver6v33100L18stebz_case1_kernelIfPfEEv15rocblas_erange_T_S4_T0_ilPiS6_PS4_lS6_lS6_li
		.amdhsa_group_segment_fixed_size 0
		.amdhsa_private_segment_fixed_size 0
		.amdhsa_kernarg_size 368
		.amdhsa_user_sgpr_count 6
		.amdhsa_user_sgpr_private_segment_buffer 1
		.amdhsa_user_sgpr_dispatch_ptr 0
		.amdhsa_user_sgpr_queue_ptr 0
		.amdhsa_user_sgpr_kernarg_segment_ptr 1
		.amdhsa_user_sgpr_dispatch_id 0
		.amdhsa_user_sgpr_flat_scratch_init 0
		.amdhsa_user_sgpr_private_segment_size 0
		.amdhsa_wavefront_size32 1
		.amdhsa_uses_dynamic_stack 0
		.amdhsa_system_sgpr_private_segment_wavefront_offset 0
		.amdhsa_system_sgpr_workgroup_id_x 1
		.amdhsa_system_sgpr_workgroup_id_y 0
		.amdhsa_system_sgpr_workgroup_id_z 0
		.amdhsa_system_sgpr_workgroup_info 0
		.amdhsa_system_vgpr_workitem_id 0
		.amdhsa_next_free_vgpr 11
		.amdhsa_next_free_sgpr 24
		.amdhsa_reserve_vcc 1
		.amdhsa_reserve_flat_scratch 0
		.amdhsa_float_round_mode_32 0
		.amdhsa_float_round_mode_16_64 0
		.amdhsa_float_denorm_mode_32 3
		.amdhsa_float_denorm_mode_16_64 3
		.amdhsa_dx10_clamp 1
		.amdhsa_ieee_mode 1
		.amdhsa_fp16_overflow 0
		.amdhsa_workgroup_processor_mode 1
		.amdhsa_memory_ordered 1
		.amdhsa_forward_progress 1
		.amdhsa_shared_vgpr_count 0
		.amdhsa_exception_fp_ieee_invalid_op 0
		.amdhsa_exception_fp_denorm_src 0
		.amdhsa_exception_fp_ieee_div_zero 0
		.amdhsa_exception_fp_ieee_overflow 0
		.amdhsa_exception_fp_ieee_underflow 0
		.amdhsa_exception_fp_ieee_inexact 0
		.amdhsa_exception_int_div_zero 0
	.end_amdhsa_kernel
	.section	.text._ZN9rocsolver6v33100L18stebz_case1_kernelIfPfEEv15rocblas_erange_T_S4_T0_ilPiS6_PS4_lS6_lS6_li,"axG",@progbits,_ZN9rocsolver6v33100L18stebz_case1_kernelIfPfEEv15rocblas_erange_T_S4_T0_ilPiS6_PS4_lS6_lS6_li,comdat
.Lfunc_end1:
	.size	_ZN9rocsolver6v33100L18stebz_case1_kernelIfPfEEv15rocblas_erange_T_S4_T0_ilPiS6_PS4_lS6_lS6_li, .Lfunc_end1-_ZN9rocsolver6v33100L18stebz_case1_kernelIfPfEEv15rocblas_erange_T_S4_T0_ilPiS6_PS4_lS6_lS6_li
                                        ; -- End function
	.set _ZN9rocsolver6v33100L18stebz_case1_kernelIfPfEEv15rocblas_erange_T_S4_T0_ilPiS6_PS4_lS6_lS6_li.num_vgpr, 11
	.set _ZN9rocsolver6v33100L18stebz_case1_kernelIfPfEEv15rocblas_erange_T_S4_T0_ilPiS6_PS4_lS6_lS6_li.num_agpr, 0
	.set _ZN9rocsolver6v33100L18stebz_case1_kernelIfPfEEv15rocblas_erange_T_S4_T0_ilPiS6_PS4_lS6_lS6_li.numbered_sgpr, 24
	.set _ZN9rocsolver6v33100L18stebz_case1_kernelIfPfEEv15rocblas_erange_T_S4_T0_ilPiS6_PS4_lS6_lS6_li.num_named_barrier, 0
	.set _ZN9rocsolver6v33100L18stebz_case1_kernelIfPfEEv15rocblas_erange_T_S4_T0_ilPiS6_PS4_lS6_lS6_li.private_seg_size, 0
	.set _ZN9rocsolver6v33100L18stebz_case1_kernelIfPfEEv15rocblas_erange_T_S4_T0_ilPiS6_PS4_lS6_lS6_li.uses_vcc, 1
	.set _ZN9rocsolver6v33100L18stebz_case1_kernelIfPfEEv15rocblas_erange_T_S4_T0_ilPiS6_PS4_lS6_lS6_li.uses_flat_scratch, 0
	.set _ZN9rocsolver6v33100L18stebz_case1_kernelIfPfEEv15rocblas_erange_T_S4_T0_ilPiS6_PS4_lS6_lS6_li.has_dyn_sized_stack, 0
	.set _ZN9rocsolver6v33100L18stebz_case1_kernelIfPfEEv15rocblas_erange_T_S4_T0_ilPiS6_PS4_lS6_lS6_li.has_recursion, 0
	.set _ZN9rocsolver6v33100L18stebz_case1_kernelIfPfEEv15rocblas_erange_T_S4_T0_ilPiS6_PS4_lS6_lS6_li.has_indirect_call, 0
	.section	.AMDGPU.csdata,"",@progbits
; Kernel info:
; codeLenInByte = 596
; TotalNumSgprs: 26
; NumVgprs: 11
; ScratchSize: 0
; MemoryBound: 0
; FloatMode: 240
; IeeeMode: 1
; LDSByteSize: 0 bytes/workgroup (compile time only)
; SGPRBlocks: 0
; VGPRBlocks: 1
; NumSGPRsForWavesPerEU: 26
; NumVGPRsForWavesPerEU: 11
; Occupancy: 16
; WaveLimiterHint : 0
; COMPUTE_PGM_RSRC2:SCRATCH_EN: 0
; COMPUTE_PGM_RSRC2:USER_SGPR: 6
; COMPUTE_PGM_RSRC2:TRAP_HANDLER: 0
; COMPUTE_PGM_RSRC2:TGID_X_EN: 1
; COMPUTE_PGM_RSRC2:TGID_Y_EN: 0
; COMPUTE_PGM_RSRC2:TGID_Z_EN: 0
; COMPUTE_PGM_RSRC2:TIDIG_COMP_CNT: 0
	.section	.text._ZN9rocsolver6v33100L22stebz_splitting_kernelIfPfEEv15rocblas_erange_iT_S4_iiT0_iiS5_iiPiPS4_lS6_lS6_S7_S7_S7_S7_S6_S4_S4_,"axG",@progbits,_ZN9rocsolver6v33100L22stebz_splitting_kernelIfPfEEv15rocblas_erange_iT_S4_iiT0_iiS5_iiPiPS4_lS6_lS6_S7_S7_S7_S7_S6_S4_S4_,comdat
	.globl	_ZN9rocsolver6v33100L22stebz_splitting_kernelIfPfEEv15rocblas_erange_iT_S4_iiT0_iiS5_iiPiPS4_lS6_lS6_S7_S7_S7_S7_S6_S4_S4_ ; -- Begin function _ZN9rocsolver6v33100L22stebz_splitting_kernelIfPfEEv15rocblas_erange_iT_S4_iiT0_iiS5_iiPiPS4_lS6_lS6_S7_S7_S7_S7_S6_S4_S4_
	.p2align	8
	.type	_ZN9rocsolver6v33100L22stebz_splitting_kernelIfPfEEv15rocblas_erange_iT_S4_iiT0_iiS5_iiPiPS4_lS6_lS6_S7_S7_S7_S7_S6_S4_S4_,@function
_ZN9rocsolver6v33100L22stebz_splitting_kernelIfPfEEv15rocblas_erange_iT_S4_iiT0_iiS5_iiPiPS4_lS6_lS6_S7_S7_S7_S7_S6_S4_S4_: ; @_ZN9rocsolver6v33100L22stebz_splitting_kernelIfPfEEv15rocblas_erange_iT_S4_iiT0_iiS5_iiPiPS4_lS6_lS6_S7_S7_S7_S7_S6_S4_S4_
; %bb.0:
	s_clause 0x1
	s_load_dwordx4 s[24:27], s[4:5], 0x0
	s_load_dwordx2 s[34:35], s[4:5], 0x10
	v_lshlrev_b32_e32 v14, 2, v0
	v_mov_b32_e32 v5, 0
	v_add_nc_u32_e32 v15, -1, v0
	s_mov_b32 s6, s7
	s_waitcnt lgkmcnt(0)
	s_add_i32 s33, s25, -1
	s_ashr_i32 s0, s33, 31
	s_lshr_b32 s0, s0, 24
	s_add_i32 s0, s33, s0
	s_and_b32 s1, s0, 0xffffff00
	s_ashr_i32 s0, s0, 8
	s_sub_i32 s1, s33, s1
	v_cmp_gt_i32_e32 vcc_lo, s1, v0
	v_add_co_ci_u32_e64 v16, null, s0, 0, vcc_lo
	v_cmp_eq_u32_e64 s0, 0, v0
	v_cmp_ne_u32_e32 vcc_lo, 0, v0
	ds_write_b32 v14, v16
	s_waitcnt lgkmcnt(0)
	s_barrier
	buffer_gl0_inv
	s_and_saveexec_b32 s2, vcc_lo
	s_cbranch_execz .LBB2_10
; %bb.1:
	v_mov_b32_e32 v5, 0
	v_mov_b32_e32 v1, 0
	s_mov_b32 s3, exec_lo
	v_cmpx_lt_u32_e32 6, v15
	s_cbranch_execz .LBB2_5
; %bb.2:
	v_and_b32_e32 v1, 0xf8, v0
	v_mov_b32_e32 v5, 0
	s_mov_b32 s7, 0
	s_mov_b32 s8, 0
	;; [unrolled: 1-line block ×3, first 2 shown]
	.p2align	6
.LBB2_3:                                ; =>This Inner Loop Header: Depth=1
	v_mov_b32_e32 v2, s8
	s_add_i32 s9, s9, 8
	s_add_i32 s8, s8, 32
	v_cmp_eq_u32_e64 s1, s9, v1
	ds_read_b128 v[6:9], v2
	ds_read_b128 v[10:13], v2 offset:16
	s_or_b32 s7, s1, s7
	s_waitcnt lgkmcnt(1)
	v_add_nc_u32_e32 v2, v6, v5
	v_add_nc_u32_e32 v2, v7, v2
	;; [unrolled: 1-line block ×4, first 2 shown]
	s_waitcnt lgkmcnt(0)
	v_add_nc_u32_e32 v2, v10, v2
	v_add_nc_u32_e32 v2, v11, v2
	;; [unrolled: 1-line block ×4, first 2 shown]
	s_andn2_b32 exec_lo, exec_lo, s7
	s_cbranch_execnz .LBB2_3
; %bb.4:
	s_or_b32 exec_lo, exec_lo, s7
.LBB2_5:
	s_or_b32 exec_lo, exec_lo, s3
	v_and_b32_e32 v2, 7, v0
	s_mov_b32 s7, 0
	s_mov_b32 s3, exec_lo
	v_cmpx_ne_u32_e32 0, v2
	s_cbranch_execz .LBB2_9
; %bb.6:
	v_lshlrev_b32_e32 v1, 2, v1
.LBB2_7:                                ; =>This Inner Loop Header: Depth=1
	ds_read_b32 v3, v1
	v_add_nc_u32_e32 v2, -1, v2
	v_add_nc_u32_e32 v1, 4, v1
	v_cmp_eq_u32_e64 s1, 0, v2
	s_or_b32 s7, s1, s7
	s_waitcnt lgkmcnt(0)
	v_add_nc_u32_e32 v5, v3, v5
	s_andn2_b32 exec_lo, exec_lo, s7
	s_cbranch_execnz .LBB2_7
; %bb.8:
	s_or_b32 exec_lo, exec_lo, s7
.LBB2_9:
	s_or_b32 exec_lo, exec_lo, s3
.LBB2_10:
	s_or_b32 exec_lo, exec_lo, s2
	s_clause 0x2
	s_load_dwordx4 s[28:31], s[4:5], 0x18
	s_load_dwordx16 s[8:23], s[4:5], 0x38
	s_load_dwordx2 s[36:37], s[4:5], 0x90
	v_ashrrev_i32_e32 v6, 31, v5
	s_mul_i32 s2, s25, s6
	s_mul_i32 s38, s33, s6
	s_ashr_i32 s3, s2, 31
	s_ashr_i32 s7, s6, 31
	v_lshlrev_b64 v[12:13], 2, v[5:6]
	s_lshl_b64 s[2:3], s[2:3], 2
	s_ashr_i32 s39, s38, 31
	v_mov_b32_e32 v3, 0
	s_waitcnt lgkmcnt(0)
	s_ashr_i32 s41, s30, 31
	s_mov_b32 s40, s30
	s_mul_hi_u32 s1, s12, s6
	s_mul_i32 s30, s12, s7
	s_add_u32 s2, s18, s2
	s_addc_u32 s3, s19, s3
	s_add_i32 s18, s1, s30
	v_add_co_u32 v1, s1, s2, v12
	v_add_co_ci_u32_e64 v2, null, s3, v13, s1
	s_mul_i32 s13, s13, s6
	s_mul_hi_i32 s43, s31, s6
	s_mul_i32 s42, s31, s6
	s_add_i32 s19, s18, s13
	s_mul_i32 s18, s12, s6
	s_mov_b32 s3, exec_lo
	v_cmpx_lt_i32_e32 0, v16
	s_cbranch_execz .LBB2_16
; %bb.11:
	s_load_dwordx4 s[44:47], s[4:5], 0x28
	v_mov_b32_e32 v3, 0
	s_waitcnt lgkmcnt(0)
	s_ashr_i32 s13, s46, 31
	s_mul_hi_i32 s31, s6, s47
	s_mul_i32 s30, s6, s47
	s_mov_b32 s12, s46
	s_lshl_b64 s[30:31], s[30:31], 2
	s_lshl_b64 s[12:13], s[12:13], 2
	s_add_u32 s1, s30, s12
	s_addc_u32 s2, s31, s13
	s_add_u32 s1, s44, s1
	s_addc_u32 s2, s45, s2
	s_lshl_b64 s[12:13], s[42:43], 2
	s_lshl_b64 s[30:31], s[40:41], 2
	v_add_co_u32 v6, s1, s1, v12
	v_add_co_ci_u32_e64 v7, null, s2, v13, s1
	s_add_u32 s1, s12, s30
	s_addc_u32 s2, s13, s31
	s_add_u32 s1, s28, s1
	s_addc_u32 s2, s29, s2
	s_lshl_b64 s[12:13], s[38:39], 2
	v_add_co_u32 v8, s1, s1, v12
	v_add_co_ci_u32_e64 v9, null, s2, v13, s1
	s_add_u32 s1, s22, s12
	s_addc_u32 s2, s23, s13
	s_lshl_b64 s[12:13], s[18:19], 2
	v_add_co_u32 v10, s1, s1, v12
	v_add_co_ci_u32_e64 v11, null, s2, v13, s1
	s_add_u32 s1, s10, s12
	s_addc_u32 s2, s11, s13
	v_add_co_u32 v12, s1, s1, v12
	v_add_co_ci_u32_e64 v13, null, s2, v13, s1
	s_mov_b32 s12, 0
	s_branch .LBB2_13
.LBB2_12:                               ;   in Loop: Header=BB2_13 Depth=1
	s_or_b32 exec_lo, exec_lo, s2
	v_add_co_u32 v6, s1, v6, 4
	v_add_nc_u32_e32 v16, -1, v16
	v_add_co_ci_u32_e64 v7, null, 0, v7, s1
	v_add_co_u32 v8, s1, v8, 4
	global_store_dword v[10:11], v4, off
	global_store_dword v[12:13], v17, off
	v_add_co_ci_u32_e64 v9, null, 0, v9, s1
	v_add_co_u32 v10, s1, v10, 4
	v_add_co_ci_u32_e64 v11, null, 0, v11, s1
	v_cmp_eq_u32_e64 s1, 0, v16
	v_add_co_u32 v12, s2, v12, 4
	v_add_nc_u32_e32 v5, 1, v5
	v_add_co_ci_u32_e64 v13, null, 0, v13, s2
	s_or_b32 s12, s1, s12
	s_andn2_b32 exec_lo, exec_lo, s12
	s_cbranch_execz .LBB2_15
.LBB2_13:                               ; =>This Inner Loop Header: Depth=1
	global_load_dwordx2 v[18:19], v[8:9], off
	global_load_dword v17, v[6:7], off
	s_mov_b32 s2, exec_lo
	s_waitcnt vmcnt(1)
	v_mul_f32_e32 v4, v18, v19
	v_mul_f32_e64 v18, s36, |v4|
	s_waitcnt vmcnt(0)
	v_mul_f32_e32 v4, v17, v17
	v_fma_f32 v18, s36, v18, s37
	v_cmpx_gt_f32_e32 v18, v4
	s_cbranch_execz .LBB2_12
; %bb.14:                               ;   in Loop: Header=BB2_13 Depth=1
	v_ashrrev_i32_e32 v4, 31, v3
	v_lshlrev_b64 v[17:18], 2, v[3:4]
	v_add_nc_u32_e32 v3, 1, v3
	v_mov_b32_e32 v4, 0
	v_add_co_u32 v19, s1, v1, v17
	v_add_co_ci_u32_e64 v20, null, v2, v18, s1
	v_mov_b32_e32 v17, 0
	global_store_dword v[19:20], v5, off
	s_branch .LBB2_12
.LBB2_15:
	s_or_b32 exec_lo, exec_lo, s12
.LBB2_16:
	s_or_b32 exec_lo, exec_lo, s3
	v_mov_b32_e32 v4, 0
	ds_write_b32 v14, v3
	s_waitcnt lgkmcnt(0)
	s_waitcnt_vscnt null, 0x0
	s_barrier
	buffer_gl0_inv
	s_and_saveexec_b32 s1, vcc_lo
	s_cbranch_execz .LBB2_26
; %bb.17:
	v_mov_b32_e32 v4, 0
	v_mov_b32_e32 v5, 0
	s_mov_b32 s2, exec_lo
	v_cmpx_lt_u32_e32 6, v15
	s_cbranch_execz .LBB2_21
; %bb.18:
	v_and_b32_e32 v5, 0xf8, v0
	v_mov_b32_e32 v4, 0
	s_mov_b32 s3, 0
	s_mov_b32 s12, 0
	;; [unrolled: 1-line block ×3, first 2 shown]
	.p2align	6
.LBB2_19:                               ; =>This Inner Loop Header: Depth=1
	v_mov_b32_e32 v10, s12
	s_add_i32 s13, s13, 8
	s_add_i32 s12, s12, 32
	v_cmp_eq_u32_e32 vcc_lo, s13, v5
	ds_read_b128 v[6:9], v10
	ds_read_b128 v[10:13], v10 offset:16
	s_or_b32 s3, vcc_lo, s3
	s_waitcnt lgkmcnt(1)
	v_add_nc_u32_e32 v4, v6, v4
	v_add_nc_u32_e32 v4, v7, v4
	;; [unrolled: 1-line block ×4, first 2 shown]
	s_waitcnt lgkmcnt(0)
	v_add_nc_u32_e32 v4, v10, v4
	v_add_nc_u32_e32 v4, v11, v4
	;; [unrolled: 1-line block ×4, first 2 shown]
	s_andn2_b32 exec_lo, exec_lo, s3
	s_cbranch_execnz .LBB2_19
; %bb.20:
	s_or_b32 exec_lo, exec_lo, s3
.LBB2_21:
	s_or_b32 exec_lo, exec_lo, s2
	v_and_b32_e32 v6, 7, v0
	s_mov_b32 s3, 0
	s_mov_b32 s2, exec_lo
	v_cmpx_ne_u32_e32 0, v6
	s_cbranch_execz .LBB2_25
; %bb.22:
	v_lshlrev_b32_e32 v5, 2, v5
.LBB2_23:                               ; =>This Inner Loop Header: Depth=1
	ds_read_b32 v7, v5
	v_add_nc_u32_e32 v6, -1, v6
	v_add_nc_u32_e32 v5, 4, v5
	v_cmp_eq_u32_e32 vcc_lo, 0, v6
	s_or_b32 s3, vcc_lo, s3
	s_waitcnt lgkmcnt(0)
	v_add_nc_u32_e32 v4, v7, v4
	s_andn2_b32 exec_lo, exec_lo, s3
	s_cbranch_execnz .LBB2_23
; %bb.24:
	s_or_b32 exec_lo, exec_lo, s3
.LBB2_25:
	s_or_b32 exec_lo, exec_lo, s2
.LBB2_26:
	s_or_b32 exec_lo, exec_lo, s1
	s_mul_i32 s1, s16, s7
	s_mul_hi_u32 s2, s16, s6
	s_mov_b32 s13, 0
	s_add_i32 s1, s2, s1
	s_mul_i32 s2, s17, s6
	s_mov_b32 s12, exec_lo
	s_add_i32 s3, s1, s2
	s_mul_i32 s2, s16, s6
	v_cmpx_lt_i32_e32 0, v3
	s_cbranch_execz .LBB2_29
; %bb.27:
	v_ashrrev_i32_e32 v5, 31, v4
	s_lshl_b64 s[16:17], s[2:3], 2
	v_mov_b32_e32 v7, v3
	s_add_u32 s1, s14, s16
	s_addc_u32 s16, s15, s17
	v_lshlrev_b64 v[5:6], 2, v[4:5]
	v_add_co_u32 v5, vcc_lo, s1, v5
	v_add_co_ci_u32_e64 v6, null, s16, v6, vcc_lo
	.p2align	6
.LBB2_28:                               ; =>This Inner Loop Header: Depth=1
	global_load_dword v8, v[1:2], off
	v_add_nc_u32_e32 v7, -1, v7
	v_add_co_u32 v1, vcc_lo, v1, 4
	v_add_co_ci_u32_e64 v2, null, 0, v2, vcc_lo
	v_cmp_eq_u32_e32 vcc_lo, 0, v7
	s_or_b32 s13, vcc_lo, s13
	s_waitcnt vmcnt(0)
	v_add_nc_u32_e32 v8, 1, v8
	global_store_dword v[5:6], v8, off
	v_add_co_u32 v5, s1, v5, 4
	v_add_co_ci_u32_e64 v6, null, 0, v6, s1
	s_andn2_b32 exec_lo, exec_lo, s13
	s_cbranch_execnz .LBB2_28
.LBB2_29:
	s_or_b32 exec_lo, exec_lo, s12
	v_cmp_eq_u32_e64 s1, 0xff, v0
	s_and_saveexec_b32 s12, s1
	s_cbranch_execz .LBB2_31
; %bb.30:
	v_add_nc_u32_e32 v1, v4, v3
	s_lshl_b64 s[16:17], s[6:7], 2
	v_mov_b32_e32 v5, s25
	s_add_u32 s8, s8, s16
	s_addc_u32 s9, s9, s17
	v_ashrrev_i32_e32 v2, 31, v1
	s_lshl_b64 s[2:3], s[2:3], 2
	v_mov_b32_e32 v4, 0
	s_add_u32 s2, s14, s2
	s_addc_u32 s3, s15, s3
	v_lshlrev_b64 v[2:3], 2, v[1:2]
	v_add_nc_u32_e32 v1, 1, v1
	v_add_co_u32 v2, vcc_lo, s2, v2
	v_add_co_ci_u32_e64 v3, null, s3, v3, vcc_lo
	global_store_dword v[2:3], v5, off
	global_store_dword v4, v1, s[8:9]
.LBB2_31:
	s_or_b32 exec_lo, exec_lo, s12
	v_mov_b32_e32 v3, 0
	v_bfrev_b32_e32 v4, -2
	s_mov_b32 s3, exec_lo
	s_waitcnt_vscnt null, 0x0
	s_barrier
	buffer_gl0_inv
	v_cmpx_gt_i32_e64 s33, v0
	s_cbranch_execz .LBB2_35
; %bb.32:
	s_lshl_b64 s[8:9], s[38:39], 2
	v_mov_b32_e32 v3, 0
	s_add_u32 s2, s22, s8
	s_addc_u32 s8, s23, s9
	v_add_co_u32 v1, s2, s2, v14
	v_add_co_ci_u32_e64 v2, null, s8, 0, s2
	v_bfrev_b32_e32 v4, -2
	v_mov_b32_e32 v5, v0
	s_mov_b32 s8, 0
	.p2align	6
.LBB2_33:                               ; =>This Inner Loop Header: Depth=1
	global_load_dword v6, v[1:2], off
	v_cmp_eq_u32_e32 vcc_lo, 0x7fffffff, v4
	v_add_nc_u32_e32 v7, 1, v5
	v_add_nc_u32_e32 v5, 0x100, v5
	v_add_co_u32 v1, s2, 0x400, v1
	v_add_co_ci_u32_e64 v2, null, 0, v2, s2
	v_cmp_le_i32_e64 s2, s33, v5
	s_waitcnt vmcnt(0)
	v_cmp_lt_f32_e64 s9, v3, |v6|
	s_or_b32 vcc_lo, s9, vcc_lo
	s_or_b32 s8, s2, s8
	v_cndmask_b32_e64 v3, v3, |v6|, vcc_lo
	v_cndmask_b32_e32 v4, v4, v7, vcc_lo
	s_andn2_b32 exec_lo, exec_lo, s8
	s_cbranch_execnz .LBB2_33
; %bb.34:
	s_or_b32 exec_lo, exec_lo, s8
.LBB2_35:
	s_or_b32 exec_lo, exec_lo, s3
	s_cmp_lt_i32 s25, 3
	ds_write_b32 v14, v3 offset:1024
	ds_write_b32 v14, v4
	s_waitcnt lgkmcnt(0)
	s_barrier
	buffer_gl0_inv
	s_cbranch_scc1 .LBB2_72
; %bb.36:
	v_or_b32_e32 v1, 0x400, v14
	s_mov_b32 s3, exec_lo
	v_cmpx_gt_u32_e32 0x80, v0
	s_cbranch_execz .LBB2_42
; %bb.37:
	ds_read_b32 v2, v1 offset:512
	ds_read_b32 v5, v14 offset:512
	s_mov_b32 s9, exec_lo
	s_waitcnt lgkmcnt(1)
	v_cmp_lt_f32_e64 s8, v3, v2
	v_cmpx_nlt_f32_e32 v3, v2
	s_cbranch_execz .LBB2_39
; %bb.38:
	v_cmp_eq_f32_e32 vcc_lo, v3, v2
	s_waitcnt lgkmcnt(0)
	v_cmp_gt_i32_e64 s2, v4, v5
	s_andn2_b32 s8, s8, exec_lo
	s_and_b32 s2, vcc_lo, s2
	s_and_b32 s2, s2, exec_lo
	s_or_b32 s8, s8, s2
.LBB2_39:
	s_or_b32 exec_lo, exec_lo, s9
	s_and_saveexec_b32 s2, s8
	s_cbranch_execz .LBB2_41
; %bb.40:
	s_waitcnt lgkmcnt(0)
	v_mov_b32_e32 v4, v5
	v_mov_b32_e32 v3, v2
	ds_write_b32 v1, v2
	ds_write_b32 v14, v5
.LBB2_41:
	s_or_b32 exec_lo, exec_lo, s2
.LBB2_42:
	s_or_b32 exec_lo, exec_lo, s3
	s_mov_b32 s3, exec_lo
	s_waitcnt lgkmcnt(0)
	s_barrier
	buffer_gl0_inv
	v_cmpx_gt_u32_e32 64, v0
	s_cbranch_execz .LBB2_48
; %bb.43:
	ds_read_b32 v2, v1 offset:256
	ds_read_b32 v5, v14 offset:256
	s_mov_b32 s9, exec_lo
	s_waitcnt lgkmcnt(1)
	v_cmp_lt_f32_e64 s8, v3, v2
	v_cmpx_nlt_f32_e32 v3, v2
	s_cbranch_execz .LBB2_45
; %bb.44:
	v_cmp_eq_f32_e32 vcc_lo, v3, v2
	s_waitcnt lgkmcnt(0)
	v_cmp_gt_i32_e64 s2, v4, v5
	s_andn2_b32 s8, s8, exec_lo
	s_and_b32 s2, vcc_lo, s2
	s_and_b32 s2, s2, exec_lo
	s_or_b32 s8, s8, s2
.LBB2_45:
	s_or_b32 exec_lo, exec_lo, s9
	s_and_saveexec_b32 s2, s8
	s_cbranch_execz .LBB2_47
; %bb.46:
	s_waitcnt lgkmcnt(0)
	v_mov_b32_e32 v4, v5
	v_mov_b32_e32 v3, v2
	ds_write_b32 v1, v2
	ds_write_b32 v14, v5
.LBB2_47:
	s_or_b32 exec_lo, exec_lo, s2
.LBB2_48:
	s_or_b32 exec_lo, exec_lo, s3
	s_mov_b32 s8, exec_lo
	s_waitcnt lgkmcnt(0)
	s_barrier
	buffer_gl0_inv
	v_cmpx_gt_u32_e32 32, v0
	s_cbranch_execz .LBB2_71
; %bb.49:
	ds_read_b32 v2, v1 offset:128
	ds_read_b32 v5, v14 offset:128
	s_mov_b32 s9, exec_lo
	s_waitcnt lgkmcnt(1)
	v_cmp_lt_f32_e64 s3, v3, v2
	v_cmpx_nlt_f32_e32 v3, v2
	s_cbranch_execz .LBB2_51
; %bb.50:
	v_cmp_eq_f32_e32 vcc_lo, v3, v2
	s_waitcnt lgkmcnt(0)
	v_cmp_gt_i32_e64 s2, v4, v5
	s_andn2_b32 s3, s3, exec_lo
	s_and_b32 s2, vcc_lo, s2
	s_and_b32 s2, s2, exec_lo
	s_or_b32 s3, s3, s2
.LBB2_51:
	s_or_b32 exec_lo, exec_lo, s9
	s_and_saveexec_b32 s2, s3
	s_cbranch_execz .LBB2_53
; %bb.52:
	v_mov_b32_e32 v3, v2
	s_waitcnt lgkmcnt(0)
	v_mov_b32_e32 v4, v5
	ds_write_b32 v1, v2
	ds_write_b32 v14, v5
.LBB2_53:
	s_or_b32 exec_lo, exec_lo, s2
	ds_read_b32 v2, v1 offset:64
	s_waitcnt lgkmcnt(1)
	ds_read_b32 v5, v14 offset:64
	s_mov_b32 s9, exec_lo
	s_waitcnt lgkmcnt(1)
	v_cmp_lt_f32_e64 s3, v3, v2
	v_cmpx_nlt_f32_e32 v3, v2
	s_cbranch_execz .LBB2_55
; %bb.54:
	v_cmp_eq_f32_e32 vcc_lo, v3, v2
	s_waitcnt lgkmcnt(0)
	v_cmp_gt_i32_e64 s2, v4, v5
	s_andn2_b32 s3, s3, exec_lo
	s_and_b32 s2, vcc_lo, s2
	s_and_b32 s2, s2, exec_lo
	s_or_b32 s3, s3, s2
.LBB2_55:
	s_or_b32 exec_lo, exec_lo, s9
	s_and_saveexec_b32 s2, s3
	s_cbranch_execz .LBB2_57
; %bb.56:
	v_mov_b32_e32 v3, v2
	s_waitcnt lgkmcnt(0)
	v_mov_b32_e32 v4, v5
	ds_write_b32 v1, v2
	ds_write_b32 v14, v5
.LBB2_57:
	s_or_b32 exec_lo, exec_lo, s2
	ds_read_b32 v2, v1 offset:32
	s_waitcnt lgkmcnt(1)
	;; [unrolled: 28-line block ×5, first 2 shown]
	ds_read_b32 v5, v14 offset:4
	s_waitcnt lgkmcnt(1)
	v_cmp_eq_f32_e32 vcc_lo, v3, v2
	s_waitcnt lgkmcnt(0)
	v_cmp_gt_i32_e64 s2, v4, v5
	v_cmp_lt_f32_e64 s3, v3, v2
	s_and_b32 s2, vcc_lo, s2
	s_or_b32 s2, s3, s2
	s_and_b32 exec_lo, exec_lo, s2
	s_cbranch_execz .LBB2_71
; %bb.70:
	ds_write_b32 v1, v2
	ds_write_b32 v14, v5
.LBB2_71:
	s_or_b32 exec_lo, exec_lo, s8
.LBB2_72:
	v_mov_b32_e32 v1, 0
	s_waitcnt lgkmcnt(0)
	s_barrier
	buffer_gl0_inv
	v_mov_b32_e32 v2, s27
	ds_read_b32 v1, v1 offset:1024
	s_clause 0x1
	s_load_dwordx4 s[12:15], s[4:5], 0x78
	s_load_dwordx2 s[8:9], s[4:5], 0x88
	s_cmpk_lg_i32 s24, 0xe9
	s_mov_b32 s2, -1
	s_waitcnt lgkmcnt(0)
	v_mul_f32_e32 v1, s37, v1
	v_cmp_gt_f32_e32 vcc_lo, s37, v1
	v_cndmask_b32_e64 v6, v1, s37, vcc_lo
	v_mov_b32_e32 v1, s26
	s_cbranch_scc1 .LBB2_121
; %bb.73:
	s_lshl_b64 s[26:27], s[42:43], 2
	s_add_u32 s2, s28, s26
	s_addc_u32 s3, s29, s27
	s_lshl_b64 s[30:31], s[40:41], 2
	s_add_u32 s40, s2, s30
	s_addc_u32 s41, s3, s31
	;; [unrolled: 3-line block ×4, first 2 shown]
	s_lshl_b32 s10, s25, 1
	s_mul_i32 s2, s10, s6
	s_ashr_i32 s3, s2, 31
	s_lshl_b64 s[16:17], s[2:3], 2
	s_add_u32 s4, s14, s16
	s_addc_u32 s5, s15, s17
	s_add_u32 s18, s8, s16
	s_addc_u32 s19, s9, s17
	s_and_saveexec_b32 s11, s0
	s_cbranch_execz .LBB2_81
; %bb.74:
	v_mov_b32_e32 v5, 0
	s_cmp_gt_i32 s25, 1
	s_clause 0x1
	global_load_dword v4, v5, s[40:41]
	global_load_dword v2, v5, s[38:39]
	s_cselect_b32 s37, -1, 0
	s_cmp_lt_i32 s25, 2
	s_waitcnt vmcnt(0)
	v_sub_f32_e64 v1, v4, |v2|
	v_sub_f32_e32 v7, v4, v1
	v_cmp_le_f32_e32 vcc_lo, v7, v6
	v_cndmask_b32_e64 v3, 0, 1, vcc_lo
	s_cbranch_scc1 .LBB2_77
; %bb.75:
	v_cmp_gt_f32_e64 s42, v7, -v6
	s_mov_b64 s[2:3], s[22:23]
	s_mov_b32 s44, s33
	s_and_b32 s42, vcc_lo, s42
	v_cndmask_b32_e64 v7, v7, -v6, s42
	s_add_u32 s42, s26, s30
	s_addc_u32 s43, s27, s31
	s_add_u32 s42, s28, s42
	s_addc_u32 s43, s29, s43
	;; [unrolled: 2-line block ×3, first 2 shown]
	s_inst_prefetch 0x1
	.p2align	6
.LBB2_76:                               ; =>This Inner Loop Header: Depth=1
	s_clause 0x1
	global_load_dword v8, v5, s[2:3]
	global_load_dword v9, v5, s[42:43]
	s_add_i32 s44, s44, -1
	s_waitcnt vmcnt(1)
	v_div_scale_f32 v10, null, v7, v7, v8
	v_div_scale_f32 v13, vcc_lo, v8, v7, v8
	s_waitcnt vmcnt(0)
	v_sub_f32_e32 v9, v9, v1
	v_rcp_f32_e32 v11, v10
	v_fma_f32 v12, -v10, v11, 1.0
	v_fmac_f32_e32 v11, v12, v11
	v_mul_f32_e32 v12, v13, v11
	v_fma_f32 v14, -v10, v12, v13
	v_fmac_f32_e32 v12, v14, v11
	v_fma_f32 v10, -v10, v12, v13
	v_div_fmas_f32 v10, v10, v11, v12
	v_div_fixup_f32 v7, v10, v7, v8
	v_sub_f32_e32 v7, v9, v7
	v_cmp_le_f32_e32 vcc_lo, v7, v6
	v_cmp_gt_f32_e64 s45, v7, -v6
	v_add_co_ci_u32_e64 v3, null, 0, v3, vcc_lo
	s_and_b32 s45, vcc_lo, s45
	s_add_u32 s42, s42, 4
	v_cndmask_b32_e64 v7, v7, -v6, s45
	s_addc_u32 s43, s43, 0
	s_add_u32 s2, s2, 4
	s_addc_u32 s3, s3, 0
	s_cmp_lg_u32 s44, 0
	s_cbranch_scc1 .LBB2_76
.LBB2_77:
	s_inst_prefetch 0x2
	v_and_b32_e32 v2, 0x7fffffff, v2
	s_andn2_b32 vcc_lo, exec_lo, s37
	v_add_f32_e32 v2, v4, v2
	v_sub_f32_e32 v7, v4, v2
	v_cmp_le_f32_e64 s2, v7, v6
	v_cndmask_b32_e64 v4, 0, 1, s2
	s_cbranch_vccnz .LBB2_80
; %bb.78:
	v_cmp_gt_f32_e64 s3, v7, -v6
	v_mov_b32_e32 v5, 0
	s_mov_b64 s[42:43], s[22:23]
	s_mov_b32 s37, s33
	s_and_b32 s2, s2, s3
	v_cndmask_b32_e64 v7, v7, -v6, s2
	s_add_u32 s2, s26, s30
	s_addc_u32 s3, s27, s31
	s_add_u32 s2, s28, s2
	s_addc_u32 s3, s29, s3
	;; [unrolled: 2-line block ×3, first 2 shown]
	s_inst_prefetch 0x1
	.p2align	6
.LBB2_79:                               ; =>This Inner Loop Header: Depth=1
	s_clause 0x1
	global_load_dword v8, v5, s[42:43]
	global_load_dword v9, v5, s[2:3]
	s_add_i32 s37, s37, -1
	s_waitcnt vmcnt(1)
	v_div_scale_f32 v10, null, v7, v7, v8
	v_div_scale_f32 v13, vcc_lo, v8, v7, v8
	s_waitcnt vmcnt(0)
	v_sub_f32_e32 v9, v9, v2
	v_rcp_f32_e32 v11, v10
	v_fma_f32 v12, -v10, v11, 1.0
	v_fmac_f32_e32 v11, v12, v11
	v_mul_f32_e32 v12, v13, v11
	v_fma_f32 v14, -v10, v12, v13
	v_fmac_f32_e32 v12, v14, v11
	v_fma_f32 v10, -v10, v12, v13
	v_div_fmas_f32 v10, v10, v11, v12
	v_div_fixup_f32 v7, v10, v7, v8
	v_sub_f32_e32 v7, v9, v7
	v_cmp_le_f32_e32 vcc_lo, v7, v6
	v_cmp_gt_f32_e64 s44, v7, -v6
	v_add_co_ci_u32_e64 v4, null, 0, v4, vcc_lo
	s_and_b32 s44, vcc_lo, s44
	s_add_u32 s2, s2, 4
	v_cndmask_b32_e64 v7, v7, -v6, s44
	s_addc_u32 s3, s3, 0
	s_add_u32 s42, s42, 4
	s_addc_u32 s43, s43, 0
	s_cmp_lg_u32 s37, 0
	s_cbranch_scc1 .LBB2_79
.LBB2_80:
	s_inst_prefetch 0x2
	v_mov_b32_e32 v5, 0
	global_store_dwordx2 v5, v[1:2], s[4:5]
	global_store_dwordx2 v5, v[3:4], s[18:19]
.LBB2_81:
	s_or_b32 exec_lo, exec_lo, s11
	v_add_nc_u32_e32 v0, 1, v0
	s_mov_b32 s11, exec_lo
	v_cmpx_gt_i32_e64 s33, v0
	s_cbranch_execz .LBB2_88
; %bb.82:
	s_add_u32 s2, s26, s30
	s_addc_u32 s3, s27, s31
	s_add_u32 s2, s28, s2
	v_mov_b32_e32 v1, 0
	s_addc_u32 s3, s29, s3
	s_add_u32 s42, s2, 4
	s_addc_u32 s43, s3, 0
	s_mov_b32 s37, 0
.LBB2_83:                               ; =>This Loop Header: Depth=1
                                        ;     Child Loop BB2_84 Depth 2
                                        ;     Child Loop BB2_86 Depth 2
	v_lshlrev_b64 v[2:3], 2, v[0:1]
	s_mov_b32 s46, 1
	s_mov_b64 s[44:45], s[42:43]
	v_add_co_u32 v4, vcc_lo, s38, v2
	v_add_co_ci_u32_e64 v5, null, s39, v3, vcc_lo
	v_add_co_u32 v2, vcc_lo, s40, v2
	v_add_co_ci_u32_e64 v3, null, s41, v3, vcc_lo
	global_load_dwordx2 v[7:8], v[4:5], off offset:-4
	s_clause 0x1
	global_load_dword v3, v[2:3], off
	global_load_dword v5, v1, s[40:41]
	s_waitcnt vmcnt(2)
	v_add_f32_e64 v7, |v8|, |v7|
	s_waitcnt vmcnt(1)
	v_sub_f32_e32 v2, v3, v7
	s_waitcnt vmcnt(0)
	v_sub_f32_e32 v8, v5, v2
	v_cmp_gt_f32_e64 s2, v8, -v6
	v_cmp_le_f32_e32 vcc_lo, v8, v6
	s_and_b32 s2, vcc_lo, s2
	v_cndmask_b32_e64 v4, 0, 1, vcc_lo
	v_cndmask_b32_e64 v8, v8, -v6, s2
	s_mov_b64 s[2:3], s[22:23]
	s_inst_prefetch 0x1
	.p2align	6
.LBB2_84:                               ;   Parent Loop BB2_83 Depth=1
                                        ; =>  This Inner Loop Header: Depth=2
	s_clause 0x1
	global_load_dword v9, v1, s[2:3]
	global_load_dword v10, v1, s[44:45]
	s_add_i32 s46, s46, 1
	s_waitcnt vmcnt(1)
	v_div_scale_f32 v11, null, v8, v8, v9
	v_div_scale_f32 v14, vcc_lo, v9, v8, v9
	s_waitcnt vmcnt(0)
	v_sub_f32_e32 v10, v10, v2
	v_rcp_f32_e32 v12, v11
	v_fma_f32 v13, -v11, v12, 1.0
	v_fmac_f32_e32 v12, v13, v12
	v_mul_f32_e32 v13, v14, v12
	v_fma_f32 v15, -v11, v13, v14
	v_fmac_f32_e32 v13, v15, v12
	v_fma_f32 v11, -v11, v13, v14
	v_div_fmas_f32 v11, v11, v12, v13
	v_div_fixup_f32 v8, v11, v8, v9
	v_sub_f32_e32 v8, v10, v8
	v_cmp_le_f32_e32 vcc_lo, v8, v6
	v_cmp_gt_f32_e64 s47, v8, -v6
	v_add_co_ci_u32_e64 v4, null, 0, v4, vcc_lo
	s_and_b32 s47, vcc_lo, s47
	s_add_u32 s44, s44, 4
	v_cndmask_b32_e64 v8, v8, -v6, s47
	s_addc_u32 s45, s45, 0
	s_add_u32 s2, s2, 4
	s_addc_u32 s3, s3, 0
	s_cmp_lg_u32 s25, s46
	s_cbranch_scc1 .LBB2_84
; %bb.85:                               ;   in Loop: Header=BB2_83 Depth=1
	s_inst_prefetch 0x2
	v_add_f32_e32 v3, v3, v7
	s_mov_b64 s[44:45], s[42:43]
	s_mov_b32 s46, s33
	v_sub_f32_e32 v7, v5, v3
	v_cmp_gt_f32_e64 s2, v7, -v6
	v_cmp_le_f32_e32 vcc_lo, v7, v6
	s_and_b32 s2, vcc_lo, s2
	v_cndmask_b32_e64 v5, 0, 1, vcc_lo
	v_cndmask_b32_e64 v7, v7, -v6, s2
	s_mov_b64 s[2:3], s[22:23]
	s_inst_prefetch 0x1
	.p2align	6
.LBB2_86:                               ;   Parent Loop BB2_83 Depth=1
                                        ; =>  This Inner Loop Header: Depth=2
	s_clause 0x1
	global_load_dword v8, v1, s[2:3]
	global_load_dword v9, v1, s[44:45]
	s_add_i32 s46, s46, -1
	s_waitcnt vmcnt(1)
	v_div_scale_f32 v10, null, v7, v7, v8
	v_div_scale_f32 v13, vcc_lo, v8, v7, v8
	s_waitcnt vmcnt(0)
	v_sub_f32_e32 v9, v9, v3
	v_rcp_f32_e32 v11, v10
	v_fma_f32 v12, -v10, v11, 1.0
	v_fmac_f32_e32 v11, v12, v11
	v_mul_f32_e32 v12, v13, v11
	v_fma_f32 v14, -v10, v12, v13
	v_fmac_f32_e32 v12, v14, v11
	v_fma_f32 v10, -v10, v12, v13
	v_div_fmas_f32 v10, v10, v11, v12
	v_div_fixup_f32 v7, v10, v7, v8
	v_sub_f32_e32 v7, v9, v7
	v_cmp_le_f32_e32 vcc_lo, v7, v6
	v_cmp_gt_f32_e64 s47, v7, -v6
	v_add_co_ci_u32_e64 v5, null, 0, v5, vcc_lo
	s_and_b32 s47, vcc_lo, s47
	s_add_u32 s44, s44, 4
	v_cndmask_b32_e64 v7, v7, -v6, s47
	s_addc_u32 s45, s45, 0
	s_add_u32 s2, s2, 4
	s_addc_u32 s3, s3, 0
	s_cmp_lg_u32 s46, 0
	s_cbranch_scc1 .LBB2_86
; %bb.87:                               ;   in Loop: Header=BB2_83 Depth=1
	s_inst_prefetch 0x2
	v_lshlrev_b32_e32 v7, 1, v0
	v_mov_b32_e32 v8, v1
	v_add_nc_u32_e32 v0, 0x100, v0
	v_lshlrev_b64 v[7:8], 2, v[7:8]
	v_cmp_le_i32_e32 vcc_lo, s33, v0
	s_or_b32 s37, vcc_lo, s37
	v_add_co_u32 v9, s2, s4, v7
	v_add_co_ci_u32_e64 v10, null, s5, v8, s2
	v_add_co_u32 v7, s2, s18, v7
	v_add_co_ci_u32_e64 v8, null, s19, v8, s2
	global_store_dwordx2 v[9:10], v[2:3], off
	global_store_dwordx2 v[7:8], v[4:5], off
	s_andn2_b32 exec_lo, exec_lo, s37
	s_cbranch_execnz .LBB2_83
.LBB2_88:
	s_or_b32 exec_lo, exec_lo, s11
	s_and_saveexec_b32 s37, s1
	s_cbranch_execz .LBB2_96
; %bb.89:
	s_ashr_i32 s3, s25, 31
	s_mov_b32 s2, s25
	v_mov_b32_e32 v5, 0
	s_lshl_b64 s[2:3], s[2:3], 2
	s_add_u32 s42, s40, s2
	s_addc_u32 s43, s41, s3
	s_add_u32 s2, s38, s2
	s_addc_u32 s3, s39, s3
	s_clause 0x2
	global_load_dword v1, v5, s[42:43] offset:-4
	global_load_dword v4, v5, s[2:3] offset:-8
	global_load_dword v3, v5, s[40:41]
	s_cmp_gt_i32 s25, 1
	s_cselect_b32 s11, -1, 0
	s_cmp_lt_i32 s25, 2
	s_waitcnt vmcnt(1)
	v_sub_f32_e64 v0, v1, |v4|
	s_waitcnt vmcnt(0)
	v_sub_f32_e32 v7, v3, v0
	v_cmp_le_f32_e32 vcc_lo, v7, v6
	v_cndmask_b32_e64 v2, 0, 1, vcc_lo
	s_cbranch_scc1 .LBB2_92
; %bb.90:
	v_cmp_gt_f32_e64 s1, v7, -v6
	s_mov_b64 s[2:3], s[22:23]
	s_and_b32 s1, vcc_lo, s1
	v_cndmask_b32_e64 v7, v7, -v6, s1
	s_add_u32 s1, s26, s30
	s_addc_u32 s38, s27, s31
	s_add_u32 s1, s28, s1
	s_addc_u32 s39, s29, s38
	;; [unrolled: 2-line block ×3, first 2 shown]
	s_mov_b32 s1, s33
	s_inst_prefetch 0x1
	.p2align	6
.LBB2_91:                               ; =>This Inner Loop Header: Depth=1
	s_clause 0x1
	global_load_dword v8, v5, s[2:3]
	global_load_dword v9, v5, s[38:39]
	s_add_i32 s1, s1, -1
	s_waitcnt vmcnt(1)
	v_div_scale_f32 v10, null, v7, v7, v8
	v_div_scale_f32 v13, vcc_lo, v8, v7, v8
	s_waitcnt vmcnt(0)
	v_sub_f32_e32 v9, v9, v0
	v_rcp_f32_e32 v11, v10
	v_fma_f32 v12, -v10, v11, 1.0
	v_fmac_f32_e32 v11, v12, v11
	v_mul_f32_e32 v12, v13, v11
	v_fma_f32 v14, -v10, v12, v13
	v_fmac_f32_e32 v12, v14, v11
	v_fma_f32 v10, -v10, v12, v13
	v_div_fmas_f32 v10, v10, v11, v12
	v_div_fixup_f32 v7, v10, v7, v8
	v_sub_f32_e32 v7, v9, v7
	v_cmp_le_f32_e32 vcc_lo, v7, v6
	v_cmp_gt_f32_e64 s40, v7, -v6
	v_add_co_ci_u32_e64 v2, null, 0, v2, vcc_lo
	s_and_b32 s40, vcc_lo, s40
	s_add_u32 s38, s38, 4
	v_cndmask_b32_e64 v7, v7, -v6, s40
	s_addc_u32 s39, s39, 0
	s_add_u32 s2, s2, 4
	s_addc_u32 s3, s3, 0
	s_cmp_lg_u32 s1, 0
	s_cbranch_scc1 .LBB2_91
.LBB2_92:
	s_inst_prefetch 0x2
	v_and_b32_e32 v4, 0x7fffffff, v4
	s_andn2_b32 vcc_lo, exec_lo, s11
	v_add_f32_e32 v1, v1, v4
	v_sub_f32_e32 v4, v3, v1
	v_cmp_le_f32_e64 s1, v4, v6
	v_cndmask_b32_e64 v3, 0, 1, s1
	s_cbranch_vccnz .LBB2_95
; %bb.93:
	v_cmp_gt_f32_e64 s2, v4, -v6
	s_and_b32 s1, s1, s2
	v_cndmask_b32_e64 v5, v4, -v6, s1
	s_add_u32 s1, s26, s30
	s_addc_u32 s2, s27, s31
	s_add_u32 s1, s28, s1
	v_mov_b32_e32 v4, 0
	s_addc_u32 s3, s29, s2
	s_add_u32 s2, s1, 4
	s_addc_u32 s3, s3, 0
	s_inst_prefetch 0x1
	.p2align	6
.LBB2_94:                               ; =>This Inner Loop Header: Depth=1
	s_clause 0x1
	global_load_dword v7, v4, s[22:23]
	global_load_dword v8, v4, s[2:3]
	s_add_i32 s33, s33, -1
	s_waitcnt vmcnt(1)
	v_div_scale_f32 v9, null, v5, v5, v7
	v_div_scale_f32 v12, vcc_lo, v7, v5, v7
	s_waitcnt vmcnt(0)
	v_sub_f32_e32 v8, v8, v1
	v_rcp_f32_e32 v10, v9
	v_fma_f32 v11, -v9, v10, 1.0
	v_fmac_f32_e32 v10, v11, v10
	v_mul_f32_e32 v11, v12, v10
	v_fma_f32 v13, -v9, v11, v12
	v_fmac_f32_e32 v11, v13, v10
	v_fma_f32 v9, -v9, v11, v12
	v_div_fmas_f32 v9, v9, v10, v11
	v_div_fixup_f32 v5, v9, v5, v7
	v_sub_f32_e32 v5, v8, v5
	v_cmp_le_f32_e32 vcc_lo, v5, v6
	v_cmp_gt_f32_e64 s1, v5, -v6
	v_add_co_ci_u32_e64 v3, null, 0, v3, vcc_lo
	s_and_b32 s1, vcc_lo, s1
	s_add_u32 s2, s2, 4
	v_cndmask_b32_e64 v5, v5, -v6, s1
	s_addc_u32 s3, s3, 0
	s_add_u32 s22, s22, 4
	s_addc_u32 s23, s23, 0
	s_cmp_lg_u32 s33, 0
	s_cbranch_scc1 .LBB2_94
.LBB2_95:
	s_inst_prefetch 0x2
	s_ashr_i32 s11, s10, 31
	v_mov_b32_e32 v4, 0
	s_lshl_b64 s[2:3], s[10:11], 2
	s_add_u32 s22, s4, s2
	s_addc_u32 s23, s5, s3
	s_add_u32 s2, s18, s2
	s_addc_u32 s3, s19, s3
	global_store_dwordx2 v4, v[0:1], s[22:23] offset:-8
	global_store_dwordx2 v4, v[2:3], s[2:3] offset:-8
.LBB2_96:
	s_or_b32 exec_lo, exec_lo, s37
	s_mov_b32 s2, 0
	s_waitcnt_vscnt null, 0x0
	s_barrier
	buffer_gl0_inv
                                        ; implicit-def: $vgpr2
                                        ; implicit-def: $vgpr1
	s_and_saveexec_b32 s1, s0
	s_cbranch_execz .LBB2_120
; %bb.97:
	s_cmp_gt_i32 s25, 0
	s_mov_b32 s2, 1
	s_cselect_b32 s33, -1, 0
	s_cmp_lt_i32 s25, 1
	s_cbranch_scc1 .LBB2_105
; %bb.98:
	s_cmp_lg_u64 s[8:9], 0
	v_mov_b32_e32 v0, 0
	s_cselect_b32 s11, -1, 0
	s_add_u32 s3, s14, s16
	s_addc_u32 s15, s15, s17
	s_add_u32 s14, s3, 4
	s_addc_u32 s15, s15, 0
	s_branch .LBB2_100
.LBB2_99:                               ;   in Loop: Header=BB2_100 Depth=1
	s_add_i32 s2, s2, 1
	s_add_u32 s14, s14, 4
	s_addc_u32 s15, s15, 0
	s_cmp_lg_u32 s2, s10
	s_cbranch_scc0 .LBB2_105
.LBB2_100:                              ; =>This Loop Header: Depth=1
                                        ;     Child Loop BB2_101 Depth 2
	s_ashr_i32 s3, s2, 31
	s_mov_b64 s[30:31], s[14:15]
	s_lshl_b64 s[22:23], s[2:3], 2
	s_add_i32 s3, s2, -1
	s_add_u32 s26, s4, s22
	s_addc_u32 s27, s5, s23
	s_mov_b32 s29, s2
	global_load_dword v1, v0, s[26:27] offset:-4
	s_mov_b32 s28, s3
	s_waitcnt vmcnt(0)
	v_mov_b32_e32 v2, v1
.LBB2_101:                              ;   Parent Loop BB2_100 Depth=1
                                        ; =>  This Inner Loop Header: Depth=2
	global_load_dword v3, v0, s[30:31]
	s_waitcnt vmcnt(0)
	v_cmp_lt_f32_e32 vcc_lo, v3, v2
	s_and_b32 s37, vcc_lo, exec_lo
	v_cndmask_b32_e32 v2, v2, v3, vcc_lo
	s_cselect_b32 s28, s29, s28
	s_add_i32 s29, s29, 1
	s_add_u32 s30, s30, 4
	s_addc_u32 s31, s31, 0
	s_cmp_eq_u32 s10, s29
	s_cbranch_scc0 .LBB2_101
; %bb.102:                              ;   in Loop: Header=BB2_100 Depth=1
	s_cmp_lg_u32 s28, s3
	s_cbranch_scc0 .LBB2_99
; %bb.103:                              ;   in Loop: Header=BB2_100 Depth=1
	s_ashr_i32 s29, s28, 31
	s_lshl_b64 s[28:29], s[28:29], 2
	s_add_u32 s30, s4, s28
	s_addc_u32 s31, s5, s29
	s_andn2_b32 vcc_lo, exec_lo, s11
	global_store_dword v0, v1, s[30:31]
	global_store_dword v0, v2, s[26:27] offset:-4
	s_cbranch_vccnz .LBB2_99
; %bb.104:                              ;   in Loop: Header=BB2_100 Depth=1
	s_add_u32 s22, s18, s22
	s_addc_u32 s23, s19, s23
	s_add_u32 s26, s18, s28
	s_addc_u32 s27, s19, s29
	s_clause 0x1
	global_load_dword v1, v0, s[22:23] offset:-4
	global_load_dword v2, v0, s[26:27]
	s_waitcnt vmcnt(1)
	global_store_dword v0, v1, s[26:27]
	s_waitcnt vmcnt(0)
	global_store_dword v0, v2, s[22:23] offset:-4
	s_branch .LBB2_99
.LBB2_105:
	s_ashr_i32 s11, s10, 31
	v_mov_b32_e32 v1, 0
	s_lshl_b64 s[2:3], s[10:11], 2
	v_cvt_f32_i32_e32 v4, s25
	s_add_u32 s2, s4, s2
	s_addc_u32 s3, s5, s3
	s_clause 0x1
	global_load_dword v2, v1, s[4:5]
	global_load_dword v3, v1, s[2:3] offset:-4
	s_waitcnt vmcnt(0)
	v_cmp_lt_f32_e64 vcc_lo, |v2|, |v3|
	v_cndmask_b32_e32 v0, v2, v3, vcc_lo
	s_andn2_b32 vcc_lo, exec_lo, s33
	v_mul_f32_e64 v5, s36, |v0|
	v_cndmask_b32_e64 v0, 0, 1, s33
	v_fma_f32 v2, -v5, v4, v2
	v_fmac_f32_e32 v3, v5, v4
	v_sub_f32_e32 v2, v2, v6
	v_add_f32_e32 v3, v6, v3
	global_store_dword v1, v2, s[4:5]
	global_store_dword v1, v3, s[2:3] offset:-4
	s_cbranch_vccnz .LBB2_111
; %bb.106:
	s_max_i32 s11, s10, 2
	s_mov_b32 s15, 0
	s_add_i32 s11, s11, -1
	s_add_u32 s2, s8, s16
	s_addc_u32 s3, s9, s17
	s_add_u32 s2, s2, 4
	s_addc_u32 s3, s3, 0
	s_branch .LBB2_108
	.p2align	6
.LBB2_107:                              ;   in Loop: Header=BB2_108 Depth=1
	s_add_i32 s15, s15, 1
	s_add_u32 s2, s2, 4
	s_addc_u32 s3, s3, 0
	s_cmp_eq_u32 s11, s15
	s_mov_b32 s14, s11
	s_cselect_b32 s18, -1, 0
	s_andn2_b32 vcc_lo, exec_lo, s18
	s_cbranch_vccz .LBB2_110
.LBB2_108:                              ; =>This Inner Loop Header: Depth=1
	global_load_dword v2, v1, s[2:3]
	s_waitcnt vmcnt(0)
	v_cmp_le_i32_e32 vcc_lo, s34, v2
	s_cbranch_vccz .LBB2_107
; %bb.109:
	s_mov_b32 s14, s15
                                        ; implicit-def: $sgpr2_sgpr3
.LBB2_110:
	s_mov_b32 s15, 0
	s_branch .LBB2_112
.LBB2_111:
	s_mov_b64 s[14:15], 0
.LBB2_112:
	s_lshl_b64 s[2:3], s[14:15], 2
	v_mov_b32_e32 v2, 0
	s_add_u32 s2, s4, s2
	s_addc_u32 s3, s5, s3
	v_cmp_ne_u32_e32 vcc_lo, 1, v0
	s_mov_b32 s11, 1
	global_load_dword v1, v2, s[2:3]
	s_cbranch_vccnz .LBB2_118
; %bb.113:
	s_max_i32 s10, s10, 2
	s_add_i32 s14, s10, -1
	s_add_u32 s2, s8, s16
	s_addc_u32 s3, s9, s17
	s_add_u32 s2, s2, 4
	s_addc_u32 s3, s3, 0
	s_branch .LBB2_115
	.p2align	6
.LBB2_114:
	s_mov_b32 s8, s11
                                        ; implicit-def: $sgpr2_sgpr3
	s_branch .LBB2_117
.LBB2_115:                              ; =>This Inner Loop Header: Depth=1
	global_load_dword v0, v2, s[2:3]
	s_waitcnt vmcnt(0)
	v_cmp_gt_i32_e32 vcc_lo, s35, v0
	s_cbranch_vccz .LBB2_114
; %bb.116:                              ;   in Loop: Header=BB2_115 Depth=1
	s_add_i32 s11, s11, 1
	s_add_u32 s2, s2, 4
	s_addc_u32 s3, s3, 0
	s_cmp_eq_u32 s10, s11
	s_mov_b32 s8, s14
	s_cselect_b32 s9, -1, 0
	s_andn2_b32 vcc_lo, exec_lo, s9
	s_cbranch_vccnz .LBB2_115
.LBB2_117:
	s_ashr_i32 s9, s8, 31
	s_branch .LBB2_119
.LBB2_118:
	s_mov_b64 s[8:9], 0
.LBB2_119:
	s_lshl_b64 s[8:9], s[8:9], 2
	v_mov_b32_e32 v0, 0
	s_add_u32 s4, s4, s8
	s_addc_u32 s5, s5, s9
	s_mov_b32 s2, exec_lo
	global_load_dword v2, v0, s[4:5]
.LBB2_120:
	s_or_b32 exec_lo, exec_lo, s1
.LBB2_121:
	s_and_saveexec_b32 s1, s2
	s_cbranch_execz .LBB2_124
; %bb.122:
	s_and_b32 exec_lo, exec_lo, s0
	s_cbranch_execz .LBB2_124
; %bb.123:
	s_lshl_b64 s[0:1], s[6:7], 2
	v_mov_b32_e32 v0, 0
	s_add_u32 s0, s20, s0
	s_addc_u32 s1, s21, s1
	s_lshl_b32 s2, s6, 1
	s_ashr_i32 s3, s2, 31
	s_lshl_b64 s[2:3], s[2:3], 2
	s_add_u32 s2, s12, s2
	s_addc_u32 s3, s13, s3
	s_cmpk_eq_i32 s24, 0xe7
	s_cselect_b32 s4, -1, 0
	s_waitcnt vmcnt(0)
	v_cndmask_b32_e64 v2, v2, 0, s4
	v_cndmask_b32_e64 v1, v1, 0, s4
	global_store_dword v0, v6, s[0:1]
	global_store_dwordx2 v0, v[1:2], s[2:3]
.LBB2_124:
	s_endpgm
	.section	.rodata,"a",@progbits
	.p2align	6, 0x0
	.amdhsa_kernel _ZN9rocsolver6v33100L22stebz_splitting_kernelIfPfEEv15rocblas_erange_iT_S4_iiT0_iiS5_iiPiPS4_lS6_lS6_S7_S7_S7_S7_S6_S4_S4_
		.amdhsa_group_segment_fixed_size 2048
		.amdhsa_private_segment_fixed_size 0
		.amdhsa_kernarg_size 152
		.amdhsa_user_sgpr_count 6
		.amdhsa_user_sgpr_private_segment_buffer 1
		.amdhsa_user_sgpr_dispatch_ptr 0
		.amdhsa_user_sgpr_queue_ptr 0
		.amdhsa_user_sgpr_kernarg_segment_ptr 1
		.amdhsa_user_sgpr_dispatch_id 0
		.amdhsa_user_sgpr_flat_scratch_init 0
		.amdhsa_user_sgpr_private_segment_size 0
		.amdhsa_wavefront_size32 1
		.amdhsa_uses_dynamic_stack 0
		.amdhsa_system_sgpr_private_segment_wavefront_offset 0
		.amdhsa_system_sgpr_workgroup_id_x 1
		.amdhsa_system_sgpr_workgroup_id_y 1
		.amdhsa_system_sgpr_workgroup_id_z 0
		.amdhsa_system_sgpr_workgroup_info 0
		.amdhsa_system_vgpr_workitem_id 0
		.amdhsa_next_free_vgpr 21
		.amdhsa_next_free_sgpr 48
		.amdhsa_reserve_vcc 1
		.amdhsa_reserve_flat_scratch 0
		.amdhsa_float_round_mode_32 0
		.amdhsa_float_round_mode_16_64 0
		.amdhsa_float_denorm_mode_32 3
		.amdhsa_float_denorm_mode_16_64 3
		.amdhsa_dx10_clamp 1
		.amdhsa_ieee_mode 1
		.amdhsa_fp16_overflow 0
		.amdhsa_workgroup_processor_mode 1
		.amdhsa_memory_ordered 1
		.amdhsa_forward_progress 1
		.amdhsa_shared_vgpr_count 0
		.amdhsa_exception_fp_ieee_invalid_op 0
		.amdhsa_exception_fp_denorm_src 0
		.amdhsa_exception_fp_ieee_div_zero 0
		.amdhsa_exception_fp_ieee_overflow 0
		.amdhsa_exception_fp_ieee_underflow 0
		.amdhsa_exception_fp_ieee_inexact 0
		.amdhsa_exception_int_div_zero 0
	.end_amdhsa_kernel
	.section	.text._ZN9rocsolver6v33100L22stebz_splitting_kernelIfPfEEv15rocblas_erange_iT_S4_iiT0_iiS5_iiPiPS4_lS6_lS6_S7_S7_S7_S7_S6_S4_S4_,"axG",@progbits,_ZN9rocsolver6v33100L22stebz_splitting_kernelIfPfEEv15rocblas_erange_iT_S4_iiT0_iiS5_iiPiPS4_lS6_lS6_S7_S7_S7_S7_S6_S4_S4_,comdat
.Lfunc_end2:
	.size	_ZN9rocsolver6v33100L22stebz_splitting_kernelIfPfEEv15rocblas_erange_iT_S4_iiT0_iiS5_iiPiPS4_lS6_lS6_S7_S7_S7_S7_S6_S4_S4_, .Lfunc_end2-_ZN9rocsolver6v33100L22stebz_splitting_kernelIfPfEEv15rocblas_erange_iT_S4_iiT0_iiS5_iiPiPS4_lS6_lS6_S7_S7_S7_S7_S6_S4_S4_
                                        ; -- End function
	.set _ZN9rocsolver6v33100L22stebz_splitting_kernelIfPfEEv15rocblas_erange_iT_S4_iiT0_iiS5_iiPiPS4_lS6_lS6_S7_S7_S7_S7_S6_S4_S4_.num_vgpr, 21
	.set _ZN9rocsolver6v33100L22stebz_splitting_kernelIfPfEEv15rocblas_erange_iT_S4_iiT0_iiS5_iiPiPS4_lS6_lS6_S7_S7_S7_S7_S6_S4_S4_.num_agpr, 0
	.set _ZN9rocsolver6v33100L22stebz_splitting_kernelIfPfEEv15rocblas_erange_iT_S4_iiT0_iiS5_iiPiPS4_lS6_lS6_S7_S7_S7_S7_S6_S4_S4_.numbered_sgpr, 48
	.set _ZN9rocsolver6v33100L22stebz_splitting_kernelIfPfEEv15rocblas_erange_iT_S4_iiT0_iiS5_iiPiPS4_lS6_lS6_S7_S7_S7_S7_S6_S4_S4_.num_named_barrier, 0
	.set _ZN9rocsolver6v33100L22stebz_splitting_kernelIfPfEEv15rocblas_erange_iT_S4_iiT0_iiS5_iiPiPS4_lS6_lS6_S7_S7_S7_S7_S6_S4_S4_.private_seg_size, 0
	.set _ZN9rocsolver6v33100L22stebz_splitting_kernelIfPfEEv15rocblas_erange_iT_S4_iiT0_iiS5_iiPiPS4_lS6_lS6_S7_S7_S7_S7_S6_S4_S4_.uses_vcc, 1
	.set _ZN9rocsolver6v33100L22stebz_splitting_kernelIfPfEEv15rocblas_erange_iT_S4_iiT0_iiS5_iiPiPS4_lS6_lS6_S7_S7_S7_S7_S6_S4_S4_.uses_flat_scratch, 0
	.set _ZN9rocsolver6v33100L22stebz_splitting_kernelIfPfEEv15rocblas_erange_iT_S4_iiT0_iiS5_iiPiPS4_lS6_lS6_S7_S7_S7_S7_S6_S4_S4_.has_dyn_sized_stack, 0
	.set _ZN9rocsolver6v33100L22stebz_splitting_kernelIfPfEEv15rocblas_erange_iT_S4_iiT0_iiS5_iiPiPS4_lS6_lS6_S7_S7_S7_S7_S6_S4_S4_.has_recursion, 0
	.set _ZN9rocsolver6v33100L22stebz_splitting_kernelIfPfEEv15rocblas_erange_iT_S4_iiT0_iiS5_iiPiPS4_lS6_lS6_S7_S7_S7_S7_S6_S4_S4_.has_indirect_call, 0
	.section	.AMDGPU.csdata,"",@progbits
; Kernel info:
; codeLenInByte = 5964
; TotalNumSgprs: 50
; NumVgprs: 21
; ScratchSize: 0
; MemoryBound: 0
; FloatMode: 240
; IeeeMode: 1
; LDSByteSize: 2048 bytes/workgroup (compile time only)
; SGPRBlocks: 0
; VGPRBlocks: 2
; NumSGPRsForWavesPerEU: 50
; NumVGPRsForWavesPerEU: 21
; Occupancy: 16
; WaveLimiterHint : 1
; COMPUTE_PGM_RSRC2:SCRATCH_EN: 0
; COMPUTE_PGM_RSRC2:USER_SGPR: 6
; COMPUTE_PGM_RSRC2:TRAP_HANDLER: 0
; COMPUTE_PGM_RSRC2:TGID_X_EN: 1
; COMPUTE_PGM_RSRC2:TGID_Y_EN: 1
; COMPUTE_PGM_RSRC2:TGID_Z_EN: 0
; COMPUTE_PGM_RSRC2:TIDIG_COMP_CNT: 0
	.section	.text._ZN9rocsolver6v33100L22stebz_bisection_kernelIfPfEEv15rocblas_erange_iT_T0_iiS5_iiPiPS4_lS6_lS6_lS6_S6_S7_S7_S7_S7_S6_S4_S4_,"axG",@progbits,_ZN9rocsolver6v33100L22stebz_bisection_kernelIfPfEEv15rocblas_erange_iT_T0_iiS5_iiPiPS4_lS6_lS6_lS6_S6_S7_S7_S7_S7_S6_S4_S4_,comdat
	.globl	_ZN9rocsolver6v33100L22stebz_bisection_kernelIfPfEEv15rocblas_erange_iT_T0_iiS5_iiPiPS4_lS6_lS6_lS6_S6_S7_S7_S7_S7_S6_S4_S4_ ; -- Begin function _ZN9rocsolver6v33100L22stebz_bisection_kernelIfPfEEv15rocblas_erange_iT_T0_iiS5_iiPiPS4_lS6_lS6_lS6_S6_S7_S7_S7_S7_S6_S4_S4_
	.p2align	8
	.type	_ZN9rocsolver6v33100L22stebz_bisection_kernelIfPfEEv15rocblas_erange_iT_T0_iiS5_iiPiPS4_lS6_lS6_lS6_S6_S7_S7_S7_S7_S6_S4_S4_,@function
_ZN9rocsolver6v33100L22stebz_bisection_kernelIfPfEEv15rocblas_erange_iT_T0_iiS5_iiPiPS4_lS6_lS6_lS6_S6_S7_S7_S7_S7_S6_S4_S4_: ; @_ZN9rocsolver6v33100L22stebz_bisection_kernelIfPfEEv15rocblas_erange_iT_T0_iiS5_iiPiPS4_lS6_lS6_lS6_S6_S7_S7_S7_S7_S6_S4_S4_
; %bb.0:
	s_load_dwordx16 s[8:23], s[4:5], 0x30
	s_mov_b32 s0, s7
	s_ashr_i32 s1, s7, 31
	s_lshl_b64 s[2:3], s[0:1], 2
	s_waitcnt lgkmcnt(0)
	s_add_u32 s8, s8, s2
	s_addc_u32 s9, s9, s3
	s_load_dword s33, s[8:9], 0x0
	s_waitcnt lgkmcnt(0)
	s_cmp_ge_i32 s6, s33
	s_cbranch_scc1 .LBB3_85
; %bb.1:
	s_clause 0x2
	s_load_dwordx8 s[24:31], s[4:5], 0x0
	s_load_dwordx4 s[44:47], s[4:5], 0x20
	s_load_dwordx8 s[36:43], s[4:5], 0x70
	s_mul_i32 s7, s12, s1
	s_mul_hi_u32 s9, s12, s0
	s_mul_i32 s52, s13, s0
	s_mul_i32 s8, s12, s0
	;; [unrolled: 1-line block ×4, first 2 shown]
	v_lshlrev_b32_e32 v9, 4, v0
	v_lshl_or_b32 v10, v0, 2, 0x1000
	v_mov_b32_e32 v11, 0
	v_mov_b32_e32 v15, 1
                                        ; implicit-def: $sgpr59
                                        ; implicit-def: $sgpr60
                                        ; implicit-def: $vgpr16
	v_or_b32_e32 v12, 0x800, v9
	s_waitcnt lgkmcnt(0)
	s_mul_hi_i32 s35, s31, s0
	s_mul_i32 s34, s31, s0
	s_ashr_i32 s13, s30, 31
	s_mov_b32 s12, s30
	s_lshl_b64 s[30:31], s[34:35], 2
	s_mul_hi_i32 s35, s47, s0
	s_add_u32 s27, s28, s30
	s_addc_u32 s51, s29, s31
	s_lshl_b64 s[48:49], s[12:13], 2
	s_mul_i32 s34, s47, s0
	s_add_u32 s27, s27, s48
	s_addc_u32 s47, s51, s49
	s_lshl_b64 s[12:13], s[34:35], 2
	s_mov_b32 s50, s46
	s_ashr_i32 s51, s46, 31
	s_add_u32 s46, s44, s12
	s_addc_u32 s53, s45, s13
	s_lshl_b64 s[34:35], s[50:51], 2
	s_add_u32 s46, s46, s34
	s_addc_u32 s50, s53, s35
	s_add_i32 s7, s9, s7
	s_mul_hi_u32 s53, s16, s0
	s_add_i32 s9, s7, s52
	s_mul_i32 s7, s17, s0
	s_lshl_b64 s[8:9], s[8:9], 2
	s_mul_i32 s16, s16, s0
	s_add_u32 s51, s10, s8
	s_addc_u32 s52, s11, s9
	s_add_i32 s8, s53, s54
	s_mul_i32 s10, s21, s0
	s_add_i32 s17, s8, s7
	s_mul_hi_u32 s7, s20, s0
	s_lshl_b64 s[8:9], s[16:17], 2
	s_add_u32 s53, s14, s8
	s_addc_u32 s54, s15, s9
	s_add_i32 s1, s7, s1
	s_mul_i32 s8, s20, s0
	s_add_i32 s9, s1, s10
	s_lshl_b64 s[8:9], s[8:9], 2
	s_add_u32 s55, s18, s8
	s_addc_u32 s56, s19, s9
	s_add_i32 s1, s25, -1
	s_load_dwordx4 s[16:19], s[4:5], 0x90
	s_mul_i32 s8, s1, s0
	s_ashr_i32 s9, s8, 31
	s_lshl_b64 s[8:9], s[8:9], 2
	s_add_u32 s40, s40, s8
	s_addc_u32 s41, s41, s9
	s_lshl_b32 s8, s0, 1
	s_mul_i32 s0, s25, s0
	s_ashr_i32 s9, s8, 31
	s_lshl_b64 s[8:9], s[8:9], 2
	s_add_u32 s8, s42, s8
	s_addc_u32 s9, s43, s9
	s_add_u32 s10, s38, s2
	s_addc_u32 s11, s39, s3
	s_load_dword s39, s[4:5], 0xa0
	s_load_dword s38, s[10:11], 0x0
	s_add_u32 s10, s22, s2
	s_addc_u32 s11, s23, s3
	s_lshl_b32 s2, s0, 2
	s_ashr_i32 s3, s2, 31
	s_lshl_b64 s[2:3], s[2:3], 2
	s_waitcnt lgkmcnt(0)
	s_add_u32 s42, s16, s2
	s_addc_u32 s43, s17, s3
	s_add_u32 s57, s18, s2
	s_addc_u32 s58, s19, s3
	s_ashr_i32 s1, s0, 31
	v_cmp_lt_f32_e64 s2, s26, 0
	s_lshl_b64 s[0:1], s[0:1], 2
	s_add_u32 s36, s36, s0
	s_addc_u32 s37, s37, s1
	s_cmpk_lg_i32 s24, 0xe7
	v_cmp_gt_f32_e64 s0, 0x800000, s38
	s_cselect_b32 s24, -1, 0
	v_cmp_ne_u32_e64 s1, 0, v0
	v_add_f32_e64 v13, s39, s39
	v_cndmask_b32_e64 v1, 0, 0x41b17218, s0
	s_and_b32 s0, s0, exec_lo
	s_cselect_b32 s0, 32, 0
	s_add_u32 s3, s30, s48
	v_ldexp_f32 v2, s38, s0
	s_addc_u32 s4, s31, s49
	s_add_u32 s3, s28, s3
	s_addc_u32 s4, s29, s4
	s_add_u32 s48, s3, 4
	v_log_f32_e32 v2, v2
	s_addc_u32 s49, s4, 0
	s_add_u32 s3, s12, s34
	s_addc_u32 s4, s13, s35
	v_cmp_eq_u32_e64 s0, 0, v0
	s_add_u32 s3, s44, s3
	s_addc_u32 s4, s45, s4
	s_add_u32 s34, s3, 4
	s_mov_b32 s12, 0xfefa39ef
	s_addc_u32 s35, s4, 0
	v_mul_f32_e32 v3, 0x3f317217, v2
	v_cmp_gt_f32_e64 vcc_lo, 0x7f800000, |v2|
	s_mov_b32 s13, 0x3fe62e42
                                        ; implicit-def: $sgpr44
                                        ; implicit-def: $sgpr45
	v_fma_f32 v3, 0x3f317217, v2, -v3
	v_fmac_f32_e32 v3, 0x3377d1cf, v2
	v_fmac_f32_e32 v3, 0x3f317217, v2
	v_cndmask_b32_e32 v2, v2, v3, vcc_lo
	v_sub_f32_e32 v14, v2, v1
	s_branch .LBB3_4
.LBB3_2:                                ;   in Loop: Header=BB3_4 Depth=1
	s_or_b32 exec_lo, exec_lo, s3
	v_mov_b32_e32 v4, v16
	s_mov_b32 s30, s60
	s_mov_b32 s7, s59
	;; [unrolled: 1-line block ×4, first 2 shown]
.LBB3_3:                                ;   in Loop: Header=BB3_4 Depth=1
	v_mov_b32_e32 v16, v4
	s_add_i32 s6, s6, 64
	s_mov_b32 s44, s17
	s_cmp_lt_i32 s6, s33
	s_mov_b32 s45, s31
	s_mov_b32 s59, s7
	;; [unrolled: 1-line block ×3, first 2 shown]
	s_waitcnt vmcnt(0)
	s_waitcnt_vscnt null, 0x0
	s_barrier
	buffer_gl0_inv
	s_cbranch_scc0 .LBB3_85
.LBB3_4:                                ; =>This Loop Header: Depth=1
                                        ;     Child Loop BB3_9 Depth 2
                                        ;     Child Loop BB3_20 Depth 2
	;; [unrolled: 1-line block ×4, first 2 shown]
                                        ;       Child Loop BB3_37 Depth 3
                                        ;         Child Loop BB3_40 Depth 4
                                        ;         Child Loop BB3_53 Depth 4
                                        ;     Child Loop BB3_69 Depth 2
                                        ;       Child Loop BB3_71 Depth 3
	s_ashr_i32 s7, s6, 31
	s_cmp_eq_u32 s6, 0
	s_mov_b32 s16, 0
	s_cbranch_scc1 .LBB3_6
; %bb.5:                                ;   in Loop: Header=BB3_4 Depth=1
	s_lshl_b64 s[4:5], s[6:7], 2
	s_add_u32 s4, s55, s4
	s_addc_u32 s5, s56, s5
	global_load_dword v1, v11, s[4:5] offset:-4
	s_waitcnt vmcnt(0)
	v_readfirstlane_b32 s16, v1
.LBB3_6:                                ;   in Loop: Header=BB3_4 Depth=1
	s_lshl_b64 s[14:15], s[6:7], 2
	s_add_u32 s4, s55, s14
	s_addc_u32 s5, s56, s15
	global_load_dword v1, v11, s[4:5]
	s_waitcnt vmcnt(0)
	v_readfirstlane_b32 s61, v1
	s_sub_i32 s20, s61, s16
	s_cmp_lg_u32 s20, 1
	s_cbranch_scc0 .LBB3_63
; %bb.7:                                ;   in Loop: Header=BB3_4 Depth=1
	s_ashr_i32 s17, s16, 31
	s_lshl_b64 s[4:5], s[16:17], 2
	s_add_u32 s18, s27, s4
	s_addc_u32 s19, s47, s5
	s_add_u32 s22, s46, s4
	s_addc_u32 s23, s50, s5
	s_cmp_lt_i32 s20, 3
	s_clause 0x1
	global_load_dword v1, v11, s[22:23]
	global_load_dword v6, v11, s[18:19]
	s_waitcnt vmcnt(1)
	v_and_b32_e32 v3, 0x7fffffff, v1
	s_waitcnt vmcnt(0)
	v_sub_f32_e64 v2, v6, |v1|
	v_add_f32_e64 v1, v6, |v1|
	s_cbranch_scc1 .LBB3_10
; %bb.8:                                ;   in Loop: Header=BB3_4 Depth=1
	s_add_i32 s3, s20, -2
	s_add_u32 s22, s48, s4
	s_addc_u32 s23, s49, s5
	s_add_u32 s28, s34, s4
	s_addc_u32 s29, s35, s5
	.p2align	6
.LBB3_9:                                ;   Parent Loop BB3_4 Depth=1
                                        ; =>  This Inner Loop Header: Depth=2
	s_clause 0x1
	global_load_dword v4, v11, s[22:23]
	global_load_dword v5, v11, s[28:29]
	s_add_i32 s3, s3, -1
	s_add_u32 s22, s22, 4
	s_addc_u32 s23, s23, 0
	s_add_u32 s28, s28, 4
	s_addc_u32 s29, s29, 0
	s_cmp_lg_u32 s3, 0
	s_waitcnt vmcnt(1)
	v_sub_f32_e32 v7, v4, v3
	v_add_f32_e32 v3, v3, v4
	s_waitcnt vmcnt(0)
	v_sub_f32_e64 v4, v7, |v5|
	v_add_f32_e64 v7, v3, |v5|
	v_and_b32_e32 v3, 0x7fffffff, v5
	v_cmp_lt_f32_e32 vcc_lo, v4, v2
	v_cndmask_b32_e32 v2, v2, v4, vcc_lo
	v_cmp_lt_f32_e32 vcc_lo, v1, v7
	v_cndmask_b32_e32 v1, v1, v7, vcc_lo
	s_cbranch_scc1 .LBB3_9
.LBB3_10:                               ;   in Loop: Header=BB3_4 Depth=1
	s_ashr_i32 s21, s20, 31
	s_lshl_b64 s[22:23], s[20:21], 2
	s_add_u32 s22, s18, s22
	s_addc_u32 s23, s19, s23
	global_load_dword v4, v11, s[22:23] offset:-4
	s_waitcnt vmcnt(0)
	v_sub_f32_e32 v5, v4, v3
	v_add_f32_e32 v3, v3, v4
	v_cvt_f32_i32_e32 v4, s20
	v_cmp_lt_f32_e32 vcc_lo, v5, v2
	v_cndmask_b32_e32 v2, v2, v5, vcc_lo
	v_cmp_lt_f32_e32 vcc_lo, v1, v3
	v_cndmask_b32_e32 v3, v1, v3, vcc_lo
	v_cmp_lt_f32_e64 vcc_lo, |v2|, |v3|
	v_cndmask_b32_e32 v1, v2, v3, vcc_lo
	s_andn2_b32 vcc_lo, exec_lo, s24
	v_mul_f32_e64 v5, s39, |v1|
	v_fma_f32 v1, -v5, v4, v2
	v_fmac_f32_e32 v3, v5, v4
	v_subrev_f32_e32 v1, s38, v1
	v_add_f32_e32 v2, s38, v3
	s_cbranch_vccnz .LBB3_12
; %bb.11:                               ;   in Loop: Header=BB3_4 Depth=1
	global_load_dwordx2 v[3:4], v11, s[8:9]
	s_waitcnt vmcnt(0)
	v_cmp_lt_f32_e32 vcc_lo, v1, v3
	v_cndmask_b32_e32 v1, v1, v3, vcc_lo
	v_cmp_lt_f32_e32 vcc_lo, v4, v2
	v_cndmask_b32_e32 v2, v2, v4, vcc_lo
.LBB3_12:                               ;   in Loop: Header=BB3_4 Depth=1
	v_cmp_nlt_f32_e32 vcc_lo, v1, v2
	s_mov_b32 s3, -1
	s_cbranch_vccz .LBB3_16
; %bb.13:                               ;   in Loop: Header=BB3_4 Depth=1
	s_and_saveexec_b32 s3, s0
	s_cbranch_execz .LBB3_15
; %bb.14:                               ;   in Loop: Header=BB3_4 Depth=1
	s_add_u32 s22, s36, s14
	s_addc_u32 s23, s37, s15
	ds_write_b16 v11, v11 offset:4612
	global_store_dword v11, v11, s[22:23]
.LBB3_15:                               ;   in Loop: Header=BB3_4 Depth=1
	s_or_b32 exec_lo, exec_lo, s3
	s_mov_b32 s3, 0
.LBB3_16:                               ;   in Loop: Header=BB3_4 Depth=1
	v_mov_b32_e32 v4, v16
	s_mov_b32 s30, s60
	s_andn2_b32 vcc_lo, exec_lo, s3
	s_mov_b32 s7, s59
	s_mov_b32 s17, s44
	s_cbranch_vccnz .LBB3_29
; %bb.17:                               ;   in Loop: Header=BB3_4 Depth=1
	v_sub_f32_e32 v3, v2, v1
	v_add_f32_e32 v3, s38, v3
	v_cmp_gt_f32_e32 vcc_lo, 0x800000, v3
	s_and_b32 s3, vcc_lo, exec_lo
	s_cselect_b32 s3, 32, 0
	v_cndmask_b32_e64 v4, 0, 0x41b17218, vcc_lo
	v_ldexp_f32 v3, v3, s3
	v_log_f32_e32 v3, v3
	v_mul_f32_e32 v7, 0x3f317217, v3
	v_cmp_gt_f32_e64 vcc_lo, 0x7f800000, |v3|
	v_fma_f32 v7, 0x3f317217, v3, -v7
	v_fmac_f32_e32 v7, 0x3377d1cf, v3
	v_fmac_f32_e32 v7, 0x3f317217, v3
	v_cndmask_b32_e32 v3, v3, v7, vcc_lo
	v_sub_f32_e32 v3, v3, v4
	v_sub_f32_e32 v3, v3, v14
	v_cvt_f64_f32_e32 v[3:4], v3
	v_div_scale_f64 v[7:8], null, s[12:13], s[12:13], v[3:4]
	v_div_scale_f64 v[21:22], vcc_lo, v[3:4], s[12:13], v[3:4]
	v_rcp_f64_e32 v[17:18], v[7:8]
	v_fma_f64 v[19:20], -v[7:8], v[17:18], 1.0
	v_fma_f64 v[17:18], v[17:18], v[19:20], v[17:18]
	v_fma_f64 v[19:20], -v[7:8], v[17:18], 1.0
	v_fma_f64 v[17:18], v[17:18], v[19:20], v[17:18]
	v_mul_f64 v[19:20], v[21:22], v[17:18]
	v_fma_f64 v[7:8], -v[7:8], v[19:20], v[21:22]
	v_div_fmas_f64 v[7:8], v[7:8], v[17:18], v[19:20]
	v_div_fixup_f64 v[3:4], v[7:8], s[12:13], v[3:4]
	v_cvt_i32_f64_e32 v3, v[3:4]
	v_mov_b32_e32 v4, v16
	v_readfirstlane_b32 s7, v3
	s_and_saveexec_b32 s17, s0
	s_cbranch_execz .LBB3_28
; %bb.18:                               ;   in Loop: Header=BB3_4 Depth=1
	v_sub_f32_e32 v4, v6, v1
	s_add_u32 s22, s40, s4
	s_addc_u32 s23, s41, s5
	s_cmp_gt_i32 s20, 1
	ds_write_b8 v11, v11 offset:4613
	v_cmp_ge_f32_e32 vcc_lo, s38, v4
	s_cselect_b32 s21, -1, 0
	s_cmp_lt_i32 s20, 2
	v_cndmask_b32_e64 v3, 0, 1, vcc_lo
	s_cbranch_scc1 .LBB3_21
; %bb.19:                               ;   in Loop: Header=BB3_4 Depth=1
	v_cmp_gt_f32_e64 s3, v4, -s38
	s_not_b32 s28, s16
	s_mov_b64 s[30:31], s[22:23]
	s_and_b32 s3, vcc_lo, s3
	v_cndmask_b32_e64 v4, v4, -s38, s3
	s_add_i32 s3, s28, s61
	s_add_u32 s28, s48, s4
	s_addc_u32 s29, s49, s5
	s_inst_prefetch 0x1
	.p2align	6
.LBB3_20:                               ;   Parent Loop BB3_4 Depth=1
                                        ; =>  This Inner Loop Header: Depth=2
	s_clause 0x1
	global_load_dword v7, v11, s[30:31]
	global_load_dword v8, v11, s[28:29]
	s_add_i32 s3, s3, -1
	s_waitcnt vmcnt(1)
	v_div_scale_f32 v17, null, v4, v4, v7
	v_div_scale_f32 v20, vcc_lo, v7, v4, v7
	s_waitcnt vmcnt(0)
	v_sub_f32_e32 v8, v8, v1
	v_rcp_f32_e32 v18, v17
	v_fma_f32 v19, -v17, v18, 1.0
	v_fmac_f32_e32 v18, v19, v18
	v_mul_f32_e32 v19, v20, v18
	v_fma_f32 v21, -v17, v19, v20
	v_fmac_f32_e32 v19, v21, v18
	v_fma_f32 v17, -v17, v19, v20
	v_div_fmas_f32 v17, v17, v18, v19
	v_div_fixup_f32 v4, v17, v4, v7
	v_sub_f32_e32 v4, v8, v4
	v_cmp_ge_f32_e32 vcc_lo, s38, v4
	v_cmp_gt_f32_e64 s62, v4, -s38
	v_add_co_ci_u32_e64 v3, null, 0, v3, vcc_lo
	s_and_b32 s62, vcc_lo, s62
	s_add_u32 s28, s28, 4
	v_cndmask_b32_e64 v4, v4, -s38, s62
	s_addc_u32 s29, s29, 0
	s_add_u32 s30, s30, 4
	s_addc_u32 s31, s31, 0
	s_cmp_lg_u32 s3, 0
	s_cbranch_scc1 .LBB3_20
.LBB3_21:                               ;   in Loop: Header=BB3_4 Depth=1
	s_inst_prefetch 0x2
	v_sub_f32_e32 v6, v6, v2
	s_andn2_b32 vcc_lo, exec_lo, s21
	v_cmp_ge_f32_e64 s3, s38, v6
	v_cndmask_b32_e64 v4, 0, 1, s3
	s_cbranch_vccnz .LBB3_24
; %bb.22:                               ;   in Loop: Header=BB3_4 Depth=1
	v_cmp_gt_f32_e64 s21, v6, -s38
	s_not_b32 s28, s16
	s_and_b32 s3, s3, s21
	v_cndmask_b32_e64 v6, v6, -s38, s3
	s_add_i32 s3, s28, s61
	s_add_u32 s28, s48, s4
	s_addc_u32 s29, s49, s5
	s_inst_prefetch 0x1
	.p2align	6
.LBB3_23:                               ;   Parent Loop BB3_4 Depth=1
                                        ; =>  This Inner Loop Header: Depth=2
	s_clause 0x1
	global_load_dword v7, v11, s[22:23]
	global_load_dword v8, v11, s[28:29]
	s_add_i32 s3, s3, -1
	s_waitcnt vmcnt(1)
	v_div_scale_f32 v17, null, v6, v6, v7
	v_div_scale_f32 v20, vcc_lo, v7, v6, v7
	s_waitcnt vmcnt(0)
	v_sub_f32_e32 v8, v8, v2
	v_rcp_f32_e32 v18, v17
	v_fma_f32 v19, -v17, v18, 1.0
	v_fmac_f32_e32 v18, v19, v18
	v_mul_f32_e32 v19, v20, v18
	v_fma_f32 v21, -v17, v19, v20
	v_fmac_f32_e32 v19, v21, v18
	v_fma_f32 v17, -v17, v19, v20
	v_div_fmas_f32 v17, v17, v18, v19
	v_div_fixup_f32 v6, v17, v6, v7
	v_sub_f32_e32 v6, v8, v6
	v_cmp_ge_f32_e32 vcc_lo, s38, v6
	v_cmp_gt_f32_e64 s21, v6, -s38
	v_add_co_ci_u32_e64 v4, null, 0, v4, vcc_lo
	s_and_b32 s21, vcc_lo, s21
	s_add_u32 s28, s28, 4
	v_cndmask_b32_e64 v6, v6, -s38, s21
	s_addc_u32 s29, s29, 0
	s_add_u32 s22, s22, 4
	s_addc_u32 s23, s23, 0
	s_cmp_lg_u32 s3, 0
	s_cbranch_scc1 .LBB3_23
.LBB3_24:                               ;   in Loop: Header=BB3_4 Depth=1
	s_inst_prefetch 0x2
	v_sub_nc_u32_e32 v6, v4, v3
	s_mov_b32 s3, -1
	v_cmp_gt_i32_e32 vcc_lo, 1, v6
	s_cbranch_vccz .LBB3_26
; %bb.25:                               ;   in Loop: Header=BB3_4 Depth=1
	s_add_u32 s22, s36, s14
	s_addc_u32 s23, s37, s15
	ds_write_b8 v11, v11 offset:4612
	s_mov_b32 s3, 0
	global_store_dword v11, v11, s[22:23]
.LBB3_26:                               ;   in Loop: Header=BB3_4 Depth=1
	s_andn2_b32 vcc_lo, exec_lo, s3
	s_cbranch_vccnz .LBB3_28
; %bb.27:                               ;   in Loop: Header=BB3_4 Depth=1
	s_add_i32 s3, s16, s25
	ds_write_b8 v11, v15 offset:4612
	s_lshl_b32 s22, s3, 1
	s_ashr_i32 s23, s22, 31
	s_lshl_b64 s[22:23], s[22:23], 2
	s_add_u32 s28, s42, s22
	s_addc_u32 s29, s43, s23
	s_add_u32 s30, s36, s14
	s_addc_u32 s31, s37, s15
	s_add_u32 s22, s57, s22
	s_addc_u32 s23, s58, s23
	global_store_dwordx2 v11, v[1:2], s[28:29]
	global_store_dword v11, v6, s[30:31]
	global_store_dwordx2 v11, v[3:4], s[22:23]
.LBB3_28:                               ;   in Loop: Header=BB3_4 Depth=1
	s_or_b32 exec_lo, exec_lo, s17
	s_add_i32 s7, s7, 2
	s_mov_b32 s17, 0
	s_mov_b32 s30, 1
.LBB3_29:                               ;   in Loop: Header=BB3_4 Depth=1
	s_waitcnt lgkmcnt(0)
	s_waitcnt_vscnt null, 0x0
	s_barrier
	buffer_gl0_inv
	ds_read_u16 v1, v11 offset:4612
	s_waitcnt lgkmcnt(0)
	v_readfirstlane_b32 s3, v1
	s_bitcmp1_b32 s3, 0
	s_cselect_b32 s28, -1, 0
	s_bitcmp1_b32 s3, 8
	s_cselect_b32 s3, -1, 0
	s_xor_b32 s21, s3, -1
	s_and_b32 s21, s28, s21
	s_cmp_lt_i32 s17, s7
	s_cselect_b32 s22, -1, 0
	s_and_b32 s21, s21, s22
	s_andn2_b32 vcc_lo, exec_lo, s21
	s_cbranch_vccnz .LBB3_64
; %bb.30:                               ;   in Loop: Header=BB3_4 Depth=1
	v_cndmask_b32_e64 v1, s26, v5, s2
	s_add_i32 s3, s16, s25
	s_lshl_b32 s62, s16, 1
	s_lshl_b32 s63, s3, 1
	s_add_u32 s22, s40, s4
	v_cmp_gt_f32_e32 vcc_lo, s38, v1
	s_addc_u32 s23, s41, s5
	s_cmp_gt_i32 s20, 1
	s_cselect_b32 s64, -1, 0
	s_not_b32 s3, s16
	v_cndmask_b32_e64 v17, v1, s38, vcc_lo
	s_add_i32 s61, s3, s61
	s_add_u32 s20, s48, s4
	s_addc_u32 s21, s49, s5
	s_branch .LBB3_32
.LBB3_31:                               ;   in Loop: Header=BB3_32 Depth=2
	s_or_b32 exec_lo, exec_lo, s3
	s_waitcnt lgkmcnt(0)
	s_barrier
	buffer_gl0_inv
	ds_read_u16 v1, v11 offset:4612
	s_add_i32 s17, s17, 1
	s_waitcnt lgkmcnt(0)
	v_readfirstlane_b32 s3, v1
	s_bitcmp1_b32 s3, 0
	s_cselect_b32 s28, -1, 0
	s_bitcmp1_b32 s3, 8
	s_cselect_b32 s3, -1, 0
	s_xor_b32 s4, s3, -1
	s_and_b32 s4, s28, s4
	s_cmp_lt_i32 s17, s7
	s_cselect_b32 s5, -1, 0
	s_and_b32 s4, s4, s5
	s_and_b32 vcc_lo, exec_lo, s4
	s_cbranch_vccz .LBB3_65
.LBB3_32:                               ;   Parent Loop BB3_4 Depth=1
                                        ; =>  This Loop Header: Depth=2
                                        ;       Child Loop BB3_37 Depth 3
                                        ;         Child Loop BB3_40 Depth 4
                                        ;         Child Loop BB3_53 Depth 4
	s_and_saveexec_b32 s3, s0
; %bb.33:                               ;   in Loop: Header=BB3_32 Depth=2
	ds_write_b32 v11, v11 offset:4608
; %bb.34:                               ;   in Loop: Header=BB3_32 Depth=2
	s_or_b32 exec_lo, exec_lo, s3
	s_bitcmp0_b32 s17, 0
	s_cselect_b32 s3, -1, 0
	s_and_b32 s4, s3, exec_lo
	s_cselect_b32 s31, s62, s63
	s_cmp_lt_i32 s30, 1
	s_cbranch_scc1 .LBB3_60
; %bb.35:                               ;   in Loop: Header=BB3_32 Depth=2
	s_and_b32 s3, s3, exec_lo
	s_cselect_b32 s65, s63, s62
	s_mov_b32 s66, 0
	s_branch .LBB3_37
.LBB3_36:                               ;   in Loop: Header=BB3_37 Depth=3
	s_or_b32 exec_lo, exec_lo, s4
	s_addk_i32 s66, 0x80
	s_waitcnt lgkmcnt(0)
	s_cmp_ge_i32 s66, s30
	s_barrier
	buffer_gl0_inv
	s_cbranch_scc1 .LBB3_60
.LBB3_37:                               ;   Parent Loop BB3_4 Depth=1
                                        ;     Parent Loop BB3_32 Depth=2
                                        ; =>    This Loop Header: Depth=3
                                        ;         Child Loop BB3_40 Depth 4
                                        ;         Child Loop BB3_53 Depth 4
	v_add_nc_u32_e32 v1, s66, v0
	v_cmp_gt_i32_e64 s3, s30, v1
	s_and_saveexec_b32 s67, s3
	s_cbranch_execz .LBB3_50
; %bb.38:                               ;   in Loop: Header=BB3_37 Depth=3
	v_lshl_add_u32 v1, v1, 1, s65
	v_ashrrev_i32_e32 v2, 31, v1
	v_lshlrev_b64 v[3:4], 2, v[1:2]
	v_add_co_u32 v1, vcc_lo, s42, v3
	v_add_co_ci_u32_e64 v2, null, s43, v4, vcc_lo
	v_add_co_u32 v3, vcc_lo, s57, v3
	v_add_co_ci_u32_e64 v4, null, s58, v4, vcc_lo
	global_load_dwordx2 v[7:8], v[1:2], off
	global_load_dword v2, v11, s[18:19]
	s_andn2_b32 vcc_lo, exec_lo, s64
	global_load_dwordx2 v[3:4], v[3:4], off
	s_waitcnt vmcnt(2)
	v_add_f32_e32 v1, v7, v8
	s_waitcnt vmcnt(1)
	v_fmac_f32_e32 v2, -0.5, v1
	v_mul_f32_e32 v6, 0.5, v1
	v_cmp_ge_f32_e64 s4, s38, v2
	v_cndmask_b32_e64 v1, 0, 1, s4
	s_cbranch_vccnz .LBB3_41
; %bb.39:                               ;   in Loop: Header=BB3_37 Depth=3
	v_cmp_gt_f32_e64 s5, v2, -s38
	s_mov_b64 s[28:29], s[20:21]
	s_mov_b32 s68, s61
	s_and_b32 s4, s4, s5
	v_cndmask_b32_e64 v2, v2, -s38, s4
	s_mov_b64 s[4:5], s[22:23]
	s_inst_prefetch 0x1
	.p2align	6
.LBB3_40:                               ;   Parent Loop BB3_4 Depth=1
                                        ;     Parent Loop BB3_32 Depth=2
                                        ;       Parent Loop BB3_37 Depth=3
                                        ; =>      This Inner Loop Header: Depth=4
	s_clause 0x1
	global_load_dword v5, v11, s[4:5]
	global_load_dword v18, v11, s[28:29]
	s_add_i32 s68, s68, -1
	s_waitcnt vmcnt(1)
	v_div_scale_f32 v19, null, v2, v2, v5
	v_div_scale_f32 v22, vcc_lo, v5, v2, v5
	s_waitcnt vmcnt(0)
	v_sub_f32_e32 v18, v18, v6
	v_rcp_f32_e32 v20, v19
	v_fma_f32 v21, -v19, v20, 1.0
	v_fmac_f32_e32 v20, v21, v20
	v_mul_f32_e32 v21, v22, v20
	v_fma_f32 v23, -v19, v21, v22
	v_fmac_f32_e32 v21, v23, v20
	v_fma_f32 v19, -v19, v21, v22
	v_div_fmas_f32 v19, v19, v20, v21
	v_div_fixup_f32 v2, v19, v2, v5
	v_sub_f32_e32 v2, v18, v2
	v_cmp_ge_f32_e32 vcc_lo, s38, v2
	v_cmp_gt_f32_e64 s69, v2, -s38
	v_add_co_ci_u32_e64 v1, null, 0, v1, vcc_lo
	s_and_b32 s69, vcc_lo, s69
	s_add_u32 s28, s28, 4
	v_cndmask_b32_e64 v2, v2, -s38, s69
	s_addc_u32 s29, s29, 0
	s_add_u32 s4, s4, 4
	s_addc_u32 s5, s5, 0
	s_cmp_lg_u32 s68, 0
	s_cbranch_scc1 .LBB3_40
.LBB3_41:                               ;   in Loop: Header=BB3_37 Depth=3
	s_inst_prefetch 0x2
	s_waitcnt vmcnt(0)
	v_max_i32_e32 v1, v1, v3
	s_mov_b32 s4, exec_lo
	v_min_i32_e32 v2, v1, v4
	v_cmpx_ne_u32_e64 v2, v3
	s_xor_b32 s4, exec_lo, s4
	s_cbranch_execz .LBB3_47
; %bb.42:                               ;   in Loop: Header=BB3_37 Depth=3
	s_mov_b32 s5, exec_lo
	v_cmpx_le_i32_e64 v4, v1
	s_xor_b32 s5, exec_lo, s5
	s_cbranch_execz .LBB3_44
; %bb.43:                               ;   in Loop: Header=BB3_37 Depth=3
	v_mov_b32_e32 v8, v6
	v_mov_b32_e32 v1, v3
	ds_write_b32 v10, v11
	ds_write_b64 v9, v[7:8]
	ds_write_b64 v12, v[1:2]
                                        ; implicit-def: $vgpr7_vgpr8
.LBB3_44:                               ;   in Loop: Header=BB3_37 Depth=3
	s_andn2_saveexec_b32 s5, s5
	s_cbranch_execz .LBB3_46
; %bb.45:                               ;   in Loop: Header=BB3_37 Depth=3
	v_mov_b32_e32 v5, v7
	v_mov_b32_e32 v7, v6
	;; [unrolled: 1-line block ×4, first 2 shown]
	ds_write_b32 v10, v15
	ds_write_b128 v9, v[5:8]
	ds_write_b128 v12, v[1:4]
.LBB3_46:                               ;   in Loop: Header=BB3_37 Depth=3
	s_or_b32 exec_lo, exec_lo, s5
                                        ; implicit-def: $vgpr6
.LBB3_47:                               ;   in Loop: Header=BB3_37 Depth=3
	s_andn2_saveexec_b32 s4, s4
	s_cbranch_execz .LBB3_49
; %bb.48:                               ;   in Loop: Header=BB3_37 Depth=3
	v_mov_b32_e32 v7, v8
	ds_write_b32 v10, v11
	ds_write_b64 v9, v[6:7]
	ds_write_b64 v12, v[3:4]
.LBB3_49:                               ;   in Loop: Header=BB3_37 Depth=3
	s_or_b32 exec_lo, exec_lo, s4
.LBB3_50:                               ;   in Loop: Header=BB3_37 Depth=3
	s_or_b32 exec_lo, exec_lo, s67
	s_waitcnt lgkmcnt(0)
	s_barrier
	buffer_gl0_inv
	s_and_saveexec_b32 s4, s3
	s_cbranch_execz .LBB3_58
; %bb.51:                               ;   in Loop: Header=BB3_37 Depth=3
	v_mov_b32_e32 v4, 0
	s_and_saveexec_b32 s3, s1
	s_cbranch_execz .LBB3_55
; %bb.52:                               ;   in Loop: Header=BB3_37 Depth=3
	v_mov_b32_e32 v4, 0
	v_mov_b32_e32 v1, v0
	s_movk_i32 s28, 0x1000
	s_mov_b32 s5, 0
.LBB3_53:                               ;   Parent Loop BB3_4 Depth=1
                                        ;     Parent Loop BB3_32 Depth=2
                                        ;       Parent Loop BB3_37 Depth=3
                                        ; =>      This Inner Loop Header: Depth=4
	v_mov_b32_e32 v2, s28
	v_add_nc_u32_e32 v1, -1, v1
	s_add_i32 s28, s28, 4
	ds_read_b32 v2, v2
	v_cmp_eq_u32_e32 vcc_lo, 0, v1
	s_or_b32 s5, vcc_lo, s5
	s_waitcnt lgkmcnt(0)
	v_add_nc_u32_e32 v4, v2, v4
	s_andn2_b32 exec_lo, exec_lo, s5
	s_cbranch_execnz .LBB3_53
; %bb.54:                               ;   in Loop: Header=BB3_37 Depth=3
	s_or_b32 exec_lo, exec_lo, s5
.LBB3_55:                               ;   in Loop: Header=BB3_37 Depth=3
	s_or_b32 exec_lo, exec_lo, s3
	ds_read_b32 v1, v11 offset:4608
	ds_read_b64 v[7:8], v12
	ds_read_b32 v3, v10
	ds_read_b64 v[18:19], v9
	s_mov_b32 s3, exec_lo
	s_waitcnt lgkmcnt(3)
	v_add3_u32 v1, v4, v0, v1
	v_lshl_add_u32 v1, v1, 1, s31
	v_ashrrev_i32_e32 v2, 31, v1
	v_lshlrev_b64 v[5:6], 2, v[1:2]
	v_add_co_u32 v1, vcc_lo, s42, v5
	v_add_co_ci_u32_e64 v2, null, s43, v6, vcc_lo
	v_add_co_u32 v5, vcc_lo, s57, v5
	v_add_co_ci_u32_e64 v6, null, s58, v6, vcc_lo
	s_waitcnt lgkmcnt(0)
	global_store_dwordx2 v[1:2], v[18:19], off
	global_store_dwordx2 v[5:6], v[7:8], off
	v_cmpx_ne_u32_e32 0, v3
	s_cbranch_execz .LBB3_57
; %bb.56:                               ;   in Loop: Header=BB3_37 Depth=3
	ds_read_b64 v[7:8], v9 offset:8
	ds_read_b64 v[18:19], v12 offset:8
	s_waitcnt lgkmcnt(1)
	global_store_dwordx2 v[1:2], v[7:8], off offset:8
	s_waitcnt lgkmcnt(0)
	global_store_dwordx2 v[5:6], v[18:19], off offset:8
.LBB3_57:                               ;   in Loop: Header=BB3_37 Depth=3
	s_or_b32 exec_lo, exec_lo, s3
.LBB3_58:                               ;   in Loop: Header=BB3_37 Depth=3
	s_or_b32 exec_lo, exec_lo, s4
	s_sub_i32 s3, s30, s66
	s_waitcnt_vscnt null, 0x0
	s_min_i32 s3, s3, 0x80
	s_barrier
	s_add_i32 s4, s3, -1
	buffer_gl0_inv
	v_cmp_eq_u32_e32 vcc_lo, s4, v0
	s_and_saveexec_b32 s4, vcc_lo
	s_cbranch_execz .LBB3_36
; %bb.59:                               ;   in Loop: Header=BB3_37 Depth=3
	ds_read_b32 v1, v10
	ds_read_b32 v2, v11 offset:4608
	v_add_nc_u32_e32 v3, s3, v4
	s_waitcnt lgkmcnt(0)
	v_add3_u32 v1, v3, v1, v2
	ds_write_b32 v11, v1 offset:4608
	s_branch .LBB3_36
.LBB3_60:                               ;   in Loop: Header=BB3_32 Depth=2
	ds_read_b32 v1, v11 offset:4608
	s_waitcnt lgkmcnt(0)
	v_readfirstlane_b32 s30, v1
	s_and_saveexec_b32 s3, s0
	s_cbranch_execz .LBB3_31
; %bb.61:                               ;   in Loop: Header=BB3_32 Depth=2
	ds_read_b64 v[1:2], v11
	s_waitcnt lgkmcnt(0)
	v_cmp_lt_f32_e64 vcc_lo, |v1|, |v2|
	v_cndmask_b32_e32 v3, v1, v2, vcc_lo
	v_sub_f32_e32 v1, v2, v1
	v_mul_f32_e64 v3, v13, |v3|
	v_cmp_lt_f32_e32 vcc_lo, v17, v3
	v_cndmask_b32_e32 v2, v17, v3, vcc_lo
	v_cmp_nlt_f32_e32 vcc_lo, v1, v2
	s_cbranch_vccnz .LBB3_31
; %bb.62:                               ;   in Loop: Header=BB3_32 Depth=2
	ds_write_b8 v11, v15 offset:4613
	s_branch .LBB3_31
.LBB3_63:                               ;   in Loop: Header=BB3_4 Depth=1
                                        ; implicit-def: $sgpr17
                                        ; implicit-def: $sgpr31
                                        ; implicit-def: $sgpr7
                                        ; implicit-def: $sgpr30
                                        ; implicit-def: $vgpr4
	s_cbranch_execz .LBB3_3
	s_branch .LBB3_77
.LBB3_64:                               ;   in Loop: Header=BB3_4 Depth=1
	s_mov_b32 s31, s45
.LBB3_65:                               ;   in Loop: Header=BB3_4 Depth=1
	s_and_b32 s4, s0, s28
	s_and_saveexec_b32 s20, s4
	s_cbranch_execz .LBB3_76
; %bb.66:                               ;   in Loop: Header=BB3_4 Depth=1
	s_cmp_lt_i32 s30, 1
	s_cbranch_scc1 .LBB3_74
; %bb.67:                               ;   in Loop: Header=BB3_4 Depth=1
	s_add_i32 s4, s6, 1
	s_not_b32 s5, s6
	s_and_b32 s18, s3, exec_lo
	s_cselect_b32 s21, s4, s5
	s_mov_b32 s22, 0
	s_mov_b32 s23, 0
	s_inst_prefetch 0x1
	s_branch .LBB3_69
	.p2align	6
.LBB3_68:                               ;   in Loop: Header=BB3_69 Depth=2
	s_add_i32 s22, s22, 1
	s_cmp_eq_u32 s22, s30
	s_cbranch_scc1 .LBB3_73
.LBB3_69:                               ;   Parent Loop BB3_4 Depth=1
                                        ; =>  This Loop Header: Depth=2
                                        ;       Child Loop BB3_71 Depth 3
	s_lshl_b32 s4, s22, 1
	s_add_i32 s4, s4, s31
	s_ashr_i32 s5, s4, 31
	s_lshl_b64 s[4:5], s[4:5], 2
	s_add_u32 s18, s57, s4
	s_addc_u32 s19, s58, s5
	global_load_dwordx2 v[1:2], v11, s[18:19]
	s_waitcnt vmcnt(0)
	v_readfirstlane_b32 s18, v1
	v_readfirstlane_b32 s28, v2
	s_sub_i32 s29, s28, s18
	s_cmp_lt_i32 s29, 1
	s_cbranch_scc1 .LBB3_68
; %bb.70:                               ;   in Loop: Header=BB3_69 Depth=2
	s_add_u32 s4, s42, s4
	s_addc_u32 s5, s43, s5
	s_mov_b32 s61, 0
	global_load_dwordx2 v[1:2], v11, s[4:5]
	s_add_i32 s4, s16, s23
	s_ashr_i32 s5, s4, 31
	s_lshl_b64 s[18:19], s[4:5], 2
	s_add_u32 s4, s51, s18
	s_addc_u32 s5, s52, s19
	s_add_u32 s18, s53, s18
	s_addc_u32 s19, s54, s19
	s_waitcnt vmcnt(0)
	v_add_f32_e32 v1, v1, v2
	v_mul_f32_e32 v1, 0.5, v1
.LBB3_71:                               ;   Parent Loop BB3_4 Depth=1
                                        ;     Parent Loop BB3_69 Depth=2
                                        ; =>    This Inner Loop Header: Depth=3
	v_mov_b32_e32 v2, s21
	s_add_i32 s61, s61, 1
	global_store_dword v11, v1, s[4:5]
	s_add_u32 s4, s4, 4
	s_addc_u32 s5, s5, 0
	global_store_dword v11, v2, s[18:19]
	s_add_u32 s18, s18, 4
	s_addc_u32 s19, s19, 0
	s_cmp_ge_i32 s61, s29
	s_cbranch_scc0 .LBB3_71
; %bb.72:                               ;   in Loop: Header=BB3_69 Depth=2
	s_add_i32 s23, s23, s61
	s_branch .LBB3_68
.LBB3_73:                               ;   in Loop: Header=BB3_4 Depth=1
	s_inst_prefetch 0x2
	v_mov_b32_e32 v4, s28
.LBB3_74:                               ;   in Loop: Header=BB3_4 Depth=1
	s_xor_b32 s3, s3, -1
	s_and_b32 vcc_lo, exec_lo, s3
	s_cbranch_vccz .LBB3_76
; %bb.75:                               ;   in Loop: Header=BB3_4 Depth=1
	global_store_dword v11, v15, s[10:11]
.LBB3_76:                               ;   in Loop: Header=BB3_4 Depth=1
	s_or_b32 exec_lo, exec_lo, s20
	s_branch .LBB3_3
.LBB3_77:                               ;   in Loop: Header=BB3_4 Depth=1
	s_and_saveexec_b32 s3, s0
	s_cbranch_execz .LBB3_2
; %bb.78:                               ;   in Loop: Header=BB3_4 Depth=1
	s_ashr_i32 s17, s16, 31
	s_mov_b32 s7, -1
	s_lshl_b64 s[4:5], s[16:17], 2
	s_add_u32 s16, s27, s4
	s_addc_u32 s17, s47, s5
	s_andn2_b32 vcc_lo, exec_lo, s24
	global_load_dword v1, v11, s[16:17]
	s_cbranch_vccnz .LBB3_83
; %bb.79:                               ;   in Loop: Header=BB3_4 Depth=1
	global_load_dword v3, v11, s[8:9]
	s_waitcnt vmcnt(1)
	v_subrev_f32_e32 v2, s38, v1
	s_mov_b32 s7, 0
	s_waitcnt vmcnt(0)
	v_cmp_lt_f32_e32 vcc_lo, v3, v2
	v_cmp_nlt_f32_e64 s16, v3, v2
	s_cbranch_vccz .LBB3_81
; %bb.80:                               ;   in Loop: Header=BB3_4 Depth=1
	global_load_dword v3, v11, s[8:9] offset:4
	s_mov_b32 s7, -1
	s_waitcnt vmcnt(0)
	v_cmp_nge_f32_e64 s16, v3, v2
.LBB3_81:                               ;   in Loop: Header=BB3_4 Depth=1
	s_andn2_b32 vcc_lo, exec_lo, s16
	s_cbranch_vccnz .LBB3_83
; %bb.82:                               ;   in Loop: Header=BB3_4 Depth=1
	s_add_u32 s16, s36, s14
	s_addc_u32 s17, s37, s15
	s_mov_b32 s7, 0
	global_store_dword v11, v11, s[16:17]
.LBB3_83:                               ;   in Loop: Header=BB3_4 Depth=1
	s_and_b32 vcc_lo, exec_lo, s7
	s_cbranch_vccz .LBB3_2
; %bb.84:                               ;   in Loop: Header=BB3_4 Depth=1
	s_add_u32 s16, s51, s4
	s_addc_u32 s17, s52, s5
	s_add_u32 s14, s36, s14
	s_addc_u32 s15, s37, s15
	s_add_i32 s7, s6, 1
	s_add_u32 s4, s53, s4
	v_mov_b32_e32 v2, s7
	s_addc_u32 s5, s54, s5
	s_waitcnt vmcnt(0)
	global_store_dword v11, v1, s[16:17]
	global_store_dword v11, v15, s[14:15]
	;; [unrolled: 1-line block ×3, first 2 shown]
	s_branch .LBB3_2
.LBB3_85:
	s_endpgm
	.section	.rodata,"a",@progbits
	.p2align	6, 0x0
	.amdhsa_kernel _ZN9rocsolver6v33100L22stebz_bisection_kernelIfPfEEv15rocblas_erange_iT_T0_iiS5_iiPiPS4_lS6_lS6_lS6_S6_S7_S7_S7_S7_S6_S4_S4_
		.amdhsa_group_segment_fixed_size 4616
		.amdhsa_private_segment_fixed_size 0
		.amdhsa_kernarg_size 168
		.amdhsa_user_sgpr_count 6
		.amdhsa_user_sgpr_private_segment_buffer 1
		.amdhsa_user_sgpr_dispatch_ptr 0
		.amdhsa_user_sgpr_queue_ptr 0
		.amdhsa_user_sgpr_kernarg_segment_ptr 1
		.amdhsa_user_sgpr_dispatch_id 0
		.amdhsa_user_sgpr_flat_scratch_init 0
		.amdhsa_user_sgpr_private_segment_size 0
		.amdhsa_wavefront_size32 1
		.amdhsa_uses_dynamic_stack 0
		.amdhsa_system_sgpr_private_segment_wavefront_offset 0
		.amdhsa_system_sgpr_workgroup_id_x 1
		.amdhsa_system_sgpr_workgroup_id_y 1
		.amdhsa_system_sgpr_workgroup_id_z 0
		.amdhsa_system_sgpr_workgroup_info 0
		.amdhsa_system_vgpr_workitem_id 0
		.amdhsa_next_free_vgpr 24
		.amdhsa_next_free_sgpr 70
		.amdhsa_reserve_vcc 1
		.amdhsa_reserve_flat_scratch 0
		.amdhsa_float_round_mode_32 0
		.amdhsa_float_round_mode_16_64 0
		.amdhsa_float_denorm_mode_32 3
		.amdhsa_float_denorm_mode_16_64 3
		.amdhsa_dx10_clamp 1
		.amdhsa_ieee_mode 1
		.amdhsa_fp16_overflow 0
		.amdhsa_workgroup_processor_mode 1
		.amdhsa_memory_ordered 1
		.amdhsa_forward_progress 1
		.amdhsa_shared_vgpr_count 0
		.amdhsa_exception_fp_ieee_invalid_op 0
		.amdhsa_exception_fp_denorm_src 0
		.amdhsa_exception_fp_ieee_div_zero 0
		.amdhsa_exception_fp_ieee_overflow 0
		.amdhsa_exception_fp_ieee_underflow 0
		.amdhsa_exception_fp_ieee_inexact 0
		.amdhsa_exception_int_div_zero 0
	.end_amdhsa_kernel
	.section	.text._ZN9rocsolver6v33100L22stebz_bisection_kernelIfPfEEv15rocblas_erange_iT_T0_iiS5_iiPiPS4_lS6_lS6_lS6_S6_S7_S7_S7_S7_S6_S4_S4_,"axG",@progbits,_ZN9rocsolver6v33100L22stebz_bisection_kernelIfPfEEv15rocblas_erange_iT_T0_iiS5_iiPiPS4_lS6_lS6_lS6_S6_S7_S7_S7_S7_S6_S4_S4_,comdat
.Lfunc_end3:
	.size	_ZN9rocsolver6v33100L22stebz_bisection_kernelIfPfEEv15rocblas_erange_iT_T0_iiS5_iiPiPS4_lS6_lS6_lS6_S6_S7_S7_S7_S7_S6_S4_S4_, .Lfunc_end3-_ZN9rocsolver6v33100L22stebz_bisection_kernelIfPfEEv15rocblas_erange_iT_T0_iiS5_iiPiPS4_lS6_lS6_lS6_S6_S7_S7_S7_S7_S6_S4_S4_
                                        ; -- End function
	.set _ZN9rocsolver6v33100L22stebz_bisection_kernelIfPfEEv15rocblas_erange_iT_T0_iiS5_iiPiPS4_lS6_lS6_lS6_S6_S7_S7_S7_S7_S6_S4_S4_.num_vgpr, 24
	.set _ZN9rocsolver6v33100L22stebz_bisection_kernelIfPfEEv15rocblas_erange_iT_T0_iiS5_iiPiPS4_lS6_lS6_lS6_S6_S7_S7_S7_S7_S6_S4_S4_.num_agpr, 0
	.set _ZN9rocsolver6v33100L22stebz_bisection_kernelIfPfEEv15rocblas_erange_iT_T0_iiS5_iiPiPS4_lS6_lS6_lS6_S6_S7_S7_S7_S7_S6_S4_S4_.numbered_sgpr, 70
	.set _ZN9rocsolver6v33100L22stebz_bisection_kernelIfPfEEv15rocblas_erange_iT_T0_iiS5_iiPiPS4_lS6_lS6_lS6_S6_S7_S7_S7_S7_S6_S4_S4_.num_named_barrier, 0
	.set _ZN9rocsolver6v33100L22stebz_bisection_kernelIfPfEEv15rocblas_erange_iT_T0_iiS5_iiPiPS4_lS6_lS6_lS6_S6_S7_S7_S7_S7_S6_S4_S4_.private_seg_size, 0
	.set _ZN9rocsolver6v33100L22stebz_bisection_kernelIfPfEEv15rocblas_erange_iT_T0_iiS5_iiPiPS4_lS6_lS6_lS6_S6_S7_S7_S7_S7_S6_S4_S4_.uses_vcc, 1
	.set _ZN9rocsolver6v33100L22stebz_bisection_kernelIfPfEEv15rocblas_erange_iT_T0_iiS5_iiPiPS4_lS6_lS6_lS6_S6_S7_S7_S7_S7_S6_S4_S4_.uses_flat_scratch, 0
	.set _ZN9rocsolver6v33100L22stebz_bisection_kernelIfPfEEv15rocblas_erange_iT_T0_iiS5_iiPiPS4_lS6_lS6_lS6_S6_S7_S7_S7_S7_S6_S4_S4_.has_dyn_sized_stack, 0
	.set _ZN9rocsolver6v33100L22stebz_bisection_kernelIfPfEEv15rocblas_erange_iT_T0_iiS5_iiPiPS4_lS6_lS6_lS6_S6_S7_S7_S7_S7_S6_S4_S4_.has_recursion, 0
	.set _ZN9rocsolver6v33100L22stebz_bisection_kernelIfPfEEv15rocblas_erange_iT_T0_iiS5_iiPiPS4_lS6_lS6_lS6_S6_S7_S7_S7_S7_S6_S4_S4_.has_indirect_call, 0
	.section	.AMDGPU.csdata,"",@progbits
; Kernel info:
; codeLenInByte = 4016
; TotalNumSgprs: 72
; NumVgprs: 24
; ScratchSize: 0
; MemoryBound: 0
; FloatMode: 240
; IeeeMode: 1
; LDSByteSize: 4616 bytes/workgroup (compile time only)
; SGPRBlocks: 0
; VGPRBlocks: 2
; NumSGPRsForWavesPerEU: 72
; NumVGPRsForWavesPerEU: 24
; Occupancy: 16
; WaveLimiterHint : 1
; COMPUTE_PGM_RSRC2:SCRATCH_EN: 0
; COMPUTE_PGM_RSRC2:USER_SGPR: 6
; COMPUTE_PGM_RSRC2:TRAP_HANDLER: 0
; COMPUTE_PGM_RSRC2:TGID_X_EN: 1
; COMPUTE_PGM_RSRC2:TGID_Y_EN: 1
; COMPUTE_PGM_RSRC2:TGID_Z_EN: 0
; COMPUTE_PGM_RSRC2:TIDIG_COMP_CNT: 0
	.section	.text._ZN9rocsolver6v33100L22stebz_synthesis_kernelIfPfEEv15rocblas_erange_15rocblas_eorder_iiiT0_iiPiS6_PT_lS6_lS6_liS6_S8_S8_S8_S8_S6_S7_,"axG",@progbits,_ZN9rocsolver6v33100L22stebz_synthesis_kernelIfPfEEv15rocblas_erange_15rocblas_eorder_iiiT0_iiPiS6_PT_lS6_lS6_liS6_S8_S8_S8_S8_S6_S7_,comdat
	.globl	_ZN9rocsolver6v33100L22stebz_synthesis_kernelIfPfEEv15rocblas_erange_15rocblas_eorder_iiiT0_iiPiS6_PT_lS6_lS6_liS6_S8_S8_S8_S8_S6_S7_ ; -- Begin function _ZN9rocsolver6v33100L22stebz_synthesis_kernelIfPfEEv15rocblas_erange_15rocblas_eorder_iiiT0_iiPiS6_PT_lS6_lS6_liS6_S8_S8_S8_S8_S6_S7_
	.p2align	8
	.type	_ZN9rocsolver6v33100L22stebz_synthesis_kernelIfPfEEv15rocblas_erange_15rocblas_eorder_iiiT0_iiPiS6_PT_lS6_lS6_liS6_S8_S8_S8_S8_S6_S7_,@function
_ZN9rocsolver6v33100L22stebz_synthesis_kernelIfPfEEv15rocblas_erange_15rocblas_eorder_iiiT0_iiPiS6_PT_lS6_lS6_liS6_S8_S8_S8_S8_S6_S7_: ; @_ZN9rocsolver6v33100L22stebz_synthesis_kernelIfPfEEv15rocblas_erange_15rocblas_eorder_iiiT0_iiPiS6_PT_lS6_lS6_liS6_S8_S8_S8_S8_S6_S7_
; %bb.0:
	s_clause 0x1
	s_load_dword s0, s[4:5], 0xb4
	s_load_dword s1, s[4:5], 0x68
	s_waitcnt lgkmcnt(0)
	s_and_b32 s0, s0, 0xffff
	v_mad_u64_u32 v[8:9], null, s6, s0, v[0:1]
	s_mov_b32 s0, exec_lo
	v_cmpx_gt_i32_e64 s1, v8
	s_cbranch_execz .LBB4_61
; %bb.1:
	s_load_dwordx16 s[8:23], s[4:5], 0x28
	v_ashrrev_i32_e32 v9, 31, v8
	s_load_dwordx8 s[24:31], s[4:5], 0x70
	v_lshlrev_b64 v[4:5], 2, v[8:9]
	s_waitcnt lgkmcnt(0)
	v_add_co_u32 v0, vcc_lo, s10, v4
	v_add_co_ci_u32_e64 v1, null, s11, v5, vcc_lo
	v_mul_lo_u32 v6, s15, v8
	v_mul_lo_u32 v7, s14, v9
	;; [unrolled: 1-line block ×3, first 2 shown]
	global_load_dword v26, v[0:1], off
	s_clause 0x1
	s_load_dwordx4 s[36:39], s[4:5], 0x0
	s_load_dword s33, s[4:5], 0x10
	v_mad_u64_u32 v[0:1], null, s14, v8, 0
	v_mul_lo_u32 v12, s18, v9
	v_mad_u64_u32 v[2:3], null, s18, v8, 0
	v_mul_lo_u32 v13, s23, v8
	v_mul_lo_u32 v15, s22, v9
	v_mad_u64_u32 v[9:10], null, s22, v8, 0
	v_add3_u32 v1, v1, v7, v6
	v_add3_u32 v3, v3, v12, v11
	v_lshlrev_b64 v[6:7], 2, v[0:1]
	v_add3_u32 v10, v10, v15, v13
	v_lshlrev_b64 v[12:13], 2, v[2:3]
	s_waitcnt lgkmcnt(0)
	v_mul_lo_u32 v14, v8, s38
	s_cmpk_eq_i32 s36, 0xe9
	v_lshlrev_b64 v[9:10], 2, v[9:10]
	v_add_co_u32 v0, vcc_lo, s12, v6
	v_add_co_ci_u32_e64 v1, null, s13, v7, vcc_lo
	v_add_co_u32 v2, vcc_lo, s16, v12
	v_ashrrev_i32_e32 v15, 31, v14
	v_add_co_ci_u32_e64 v3, null, s17, v13, vcc_lo
	v_add_co_u32 v28, vcc_lo, s20, v9
	v_lshlrev_b64 v[14:15], 2, v[14:15]
	v_add_co_ci_u32_e64 v30, null, s21, v10, vcc_lo
	v_add_co_u32 v27, vcc_lo, s24, v14
	v_add_co_ci_u32_e64 v29, null, s25, v15, vcc_lo
	s_waitcnt vmcnt(0)
	v_cmp_gt_i32_e64 s0, 1, v26
	v_cmp_lt_i32_e32 vcc_lo, 0, v26
	s_cbranch_scc1 .LBB4_12
; %bb.2:
	v_mov_b32_e32 v10, 0
	s_and_saveexec_b32 s10, vcc_lo
	s_cbranch_execz .LBB4_14
; %bb.3:
	v_mov_b32_e32 v10, 0
	s_mov_b32 s3, 0
	s_mov_b32 s11, 0
	;; [unrolled: 1-line block ×3, first 2 shown]
	s_branch .LBB4_5
.LBB4_4:                                ;   in Loop: Header=BB4_5 Depth=1
	s_or_b32 exec_lo, exec_lo, s6
	s_add_i32 s2, s2, 1
	v_cmp_eq_u32_e32 vcc_lo, s2, v26
	s_or_b32 s11, vcc_lo, s11
	s_andn2_b32 exec_lo, exec_lo, s11
	s_cbranch_execz .LBB4_13
.LBB4_5:                                ; =>This Loop Header: Depth=1
                                        ;     Child Loop BB4_10 Depth 2
	s_cmp_eq_u32 s2, 0
	s_cbranch_scc1 .LBB4_7
; %bb.6:                                ;   in Loop: Header=BB4_5 Depth=1
	s_lshl_b64 s[6:7], s[2:3], 2
	v_add_co_u32 v14, vcc_lo, v28, s6
	v_add_co_ci_u32_e64 v15, null, s7, v30, vcc_lo
	s_mov_b64 s[6:7], s[2:3]
	global_load_dword v16, v[14:15], off offset:-4
	s_branch .LBB4_8
.LBB4_7:                                ;   in Loop: Header=BB4_5 Depth=1
	v_mov_b32_e32 v16, 0
	s_mov_b64 s[6:7], 0
.LBB4_8:                                ;   in Loop: Header=BB4_5 Depth=1
	s_lshl_b64 s[6:7], s[6:7], 2
	v_add_co_u32 v14, vcc_lo, v27, s6
	v_add_co_ci_u32_e64 v15, null, s7, v29, vcc_lo
	s_mov_b32 s6, exec_lo
	global_load_dword v9, v[14:15], off
	s_waitcnt vmcnt(0)
	v_cmpx_lt_i32_e32 0, v9
	s_cbranch_execz .LBB4_4
; %bb.9:                                ;   in Loop: Header=BB4_5 Depth=1
	v_ashrrev_i32_e32 v17, 31, v16
	v_ashrrev_i32_e32 v11, 31, v10
	v_mov_b32_e32 v21, v3
	v_mov_b32_e32 v23, v1
	v_mov_b32_e32 v20, v2
	v_lshlrev_b64 v[16:17], 2, v[16:17]
	v_lshlrev_b64 v[18:19], 2, v[10:11]
	v_mov_b32_e32 v22, v0
	s_mov_b32 s7, 0
	s_mov_b32 s14, 0
	s_inst_prefetch 0x1
	.p2align	6
.LBB4_10:                               ;   Parent Loop BB4_5 Depth=1
                                        ; =>  This Inner Loop Header: Depth=2
	v_add_co_u32 v24, vcc_lo, v20, v16
	v_add_co_ci_u32_e64 v25, null, v21, v17, vcc_lo
	s_add_i32 s14, s14, 1
	global_load_dword v9, v[24:25], off
	v_add_co_u32 v24, vcc_lo, v20, v18
	v_add_co_ci_u32_e64 v25, null, v21, v19, vcc_lo
	v_add_co_u32 v31, vcc_lo, v22, v16
	v_add_co_ci_u32_e64 v32, null, v23, v17, vcc_lo
	global_load_dword v11, v[31:32], off
	s_waitcnt vmcnt(1)
	global_store_dword v[24:25], v9, off
	global_load_dword v9, v[14:15], off
	v_add_co_u32 v24, vcc_lo, v22, v18
	v_add_co_ci_u32_e64 v25, null, v23, v19, vcc_lo
	v_add_co_u32 v22, vcc_lo, v22, 4
	v_add_co_ci_u32_e64 v23, null, 0, v23, vcc_lo
	;; [unrolled: 2-line block ×3, first 2 shown]
	s_waitcnt vmcnt(1)
	global_store_dword v[24:25], v11, off
	s_waitcnt vmcnt(0)
	v_cmp_ge_i32_e64 s1, s14, v9
	v_add_nc_u32_e32 v9, s14, v10
	s_or_b32 s7, s1, s7
	s_andn2_b32 exec_lo, exec_lo, s7
	s_cbranch_execnz .LBB4_10
; %bb.11:                               ;   in Loop: Header=BB4_5 Depth=1
	s_inst_prefetch 0x2
	s_or_b32 exec_lo, exec_lo, s7
	v_mov_b32_e32 v10, v9
	s_branch .LBB4_4
.LBB4_12:
                                        ; implicit-def: $vgpr10
	s_branch .LBB4_15
.LBB4_13:
	s_or_b32 exec_lo, exec_lo, s11
.LBB4_14:
	s_or_b32 exec_lo, exec_lo, s10
	s_cbranch_execnz .LBB4_53
.LBB4_15:
	v_add_co_u32 v9, vcc_lo, s26, v4
	v_add_co_ci_u32_e64 v10, null, s27, v5, vcc_lo
	s_load_dwordx4 s[20:23], s[4:5], 0x90
	v_lshlrev_b32_e32 v14, 1, v8
                                        ; implicit-def: $sgpr2_sgpr3
	global_load_dword v25, v[9:10], off
	v_mul_lo_u32 v10, v14, s38
	v_ashrrev_i32_e32 v11, 31, v10
	s_and_saveexec_b32 s1, s0
	s_xor_b32 s0, exec_lo, s1
; %bb.16:
	s_ashr_i32 s3, s38, 31
	s_mov_b32 s2, s38
                                        ; implicit-def: $vgpr26
                                        ; implicit-def: $vgpr27
                                        ; implicit-def: $vgpr29
                                        ; implicit-def: $vgpr28
                                        ; implicit-def: $vgpr30
                                        ; implicit-def: $vgpr12_vgpr13
; %bb.17:
	s_or_saveexec_b32 s14, s0
	v_lshlrev_b64 v[15:16], 2, v[10:11]
	v_mov_b32_e32 v11, s3
	v_mov_b32_e32 v9, 0
	;; [unrolled: 1-line block ×3, first 2 shown]
	s_xor_b32 exec_lo, exec_lo, s14
	s_cbranch_execz .LBB4_28
; %bb.18:
	v_add_co_u32 v31, vcc_lo, s12, v6
	v_add_co_ci_u32_e64 v32, null, s13, v7, vcc_lo
	v_add_co_u32 v33, vcc_lo, s16, v12
	v_add_co_ci_u32_e64 v13, null, s17, v13, vcc_lo
	s_waitcnt lgkmcnt(0)
	v_add_co_u32 v34, vcc_lo, s20, v15
	v_add_co_ci_u32_e64 v35, null, s21, v16, vcc_lo
	v_add_co_u32 v36, vcc_lo, s22, v15
	v_add_co_ci_u32_e64 v37, null, s23, v16, vcc_lo
	v_mov_b32_e32 v9, 0
	s_ashr_i32 s3, s38, 31
	s_mov_b32 s2, s38
	s_mov_b32 s11, 0
	s_lshl_b64 s[6:7], s[2:3], 2
	s_mov_b32 s15, 0
	s_mov_b32 s10, s11
	s_branch .LBB4_20
.LBB4_19:                               ;   in Loop: Header=BB4_20 Depth=1
	s_or_b32 exec_lo, exec_lo, s1
	s_add_i32 s10, s10, 1
	v_cmp_eq_u32_e32 vcc_lo, s10, v26
	s_or_b32 s15, vcc_lo, s15
	s_andn2_b32 exec_lo, exec_lo, s15
	s_cbranch_execz .LBB4_27
.LBB4_20:                               ; =>This Loop Header: Depth=1
                                        ;     Child Loop BB4_25 Depth 2
	s_cmp_eq_u32 s10, 0
	s_cbranch_scc1 .LBB4_22
; %bb.21:                               ;   in Loop: Header=BB4_20 Depth=1
	s_lshl_b64 s[0:1], s[10:11], 2
	v_add_co_u32 v10, vcc_lo, v28, s0
	v_add_co_ci_u32_e64 v11, null, s1, v30, vcc_lo
	s_mov_b64 s[0:1], s[10:11]
	global_load_dword v17, v[10:11], off offset:-4
	s_branch .LBB4_23
.LBB4_22:                               ;   in Loop: Header=BB4_20 Depth=1
	v_mov_b32_e32 v17, 0
	s_mov_b64 s[0:1], 0
.LBB4_23:                               ;   in Loop: Header=BB4_20 Depth=1
	s_lshl_b64 s[0:1], s[0:1], 2
	v_add_co_u32 v11, vcc_lo, v27, s0
	v_add_co_ci_u32_e64 v12, null, s1, v29, vcc_lo
	s_mov_b32 s1, exec_lo
	global_load_dword v10, v[11:12], off
	s_waitcnt vmcnt(0)
	v_cmpx_lt_i32_e32 0, v10
	s_cbranch_execz .LBB4_19
; %bb.24:                               ;   in Loop: Header=BB4_20 Depth=1
	v_ashrrev_i32_e32 v18, 31, v17
	v_ashrrev_i32_e32 v10, 31, v9
	s_mov_b32 s18, 0
	s_mov_b32 s19, 0
	v_lshlrev_b64 v[19:20], 2, v[17:18]
	v_lshlrev_b64 v[23:24], 2, v[9:10]
	v_add_co_u32 v17, vcc_lo, v31, v19
	v_add_co_ci_u32_e64 v18, null, v32, v20, vcc_lo
	v_add_co_u32 v19, vcc_lo, v33, v19
	v_add_co_ci_u32_e64 v20, null, v13, v20, vcc_lo
	;; [unrolled: 2-line block ×4, first 2 shown]
	s_inst_prefetch 0x1
	.p2align	6
.LBB4_25:                               ;   Parent Loop BB4_20 Depth=1
                                        ; =>  This Inner Loop Header: Depth=2
	global_load_dword v10, v[19:20], off
	v_add_co_u32 v38, vcc_lo, v21, s6
	v_add_co_ci_u32_e64 v39, null, s7, v22, vcc_lo
	s_add_i32 s19, s19, 1
	s_waitcnt vmcnt(0)
	global_store_dword v[23:24], v10, off
	global_load_dword v40, v[11:12], off
	global_load_dword v41, v[17:18], off
	v_add_co_u32 v17, vcc_lo, v17, 4
	v_add_co_ci_u32_e64 v18, null, 0, v18, vcc_lo
	v_add_co_u32 v19, vcc_lo, v19, 4
	v_add_co_ci_u32_e64 v20, null, 0, v20, vcc_lo
	v_add_co_u32 v23, s0, v23, 4
	v_add_nc_u32_e32 v10, s19, v9
	v_add_co_ci_u32_e64 v24, null, 0, v24, s0
	s_waitcnt vmcnt(0)
	global_store_dword v[21:22], v41, off
	v_add_co_u32 v21, vcc_lo, v21, 4
	v_add_co_ci_u32_e64 v22, null, 0, v22, vcc_lo
	v_cmp_ge_i32_e32 vcc_lo, s19, v40
	global_store_dword v[38:39], v41, off
	s_or_b32 s18, vcc_lo, s18
	s_andn2_b32 exec_lo, exec_lo, s18
	s_cbranch_execnz .LBB4_25
; %bb.26:                               ;   in Loop: Header=BB4_20 Depth=1
	s_inst_prefetch 0x2
	s_or_b32 exec_lo, exec_lo, s18
	v_mov_b32_e32 v9, v10
	s_branch .LBB4_19
.LBB4_27:
	s_or_b32 exec_lo, exec_lo, s15
	v_mov_b32_e32 v11, s3
	v_mov_b32_e32 v10, s2
.LBB4_28:
	s_or_b32 exec_lo, exec_lo, s14
; %bb.29:
	v_lshlrev_b64 v[10:11], 2, v[10:11]
	s_waitcnt lgkmcnt(0)
	v_add_co_u32 v24, vcc_lo, s20, v15
	v_add_co_ci_u32_e64 v26, null, s21, v16, vcc_lo
	v_add_co_u32 v27, vcc_lo, s22, v15
	v_add_co_ci_u32_e64 v28, null, s23, v16, vcc_lo
	;; [unrolled: 2-line block ×3, first 2 shown]
	s_mov_b32 s2, 1
	s_mov_b32 s1, exec_lo
	v_cmpx_lt_i32_e32 1, v9
	s_cbranch_execz .LBB4_37
; %bb.30:
	v_add_co_u32 v15, vcc_lo, v10, v15
	v_add_co_ci_u32_e64 v16, null, v11, v16, vcc_lo
	v_add_co_u32 v20, vcc_lo, v27, v10
	v_add_co_ci_u32_e64 v21, null, v28, v11, vcc_lo
	;; [unrolled: 2-line block ×3, first 2 shown]
	s_cmp_lg_u64 s[22:23], 0
	v_add_co_u32 v10, vcc_lo, v10, 4
	v_add_co_ci_u32_e64 v11, null, 0, v11, vcc_lo
	s_cselect_b32 s10, -1, 0
	s_mov_b32 s11, 0
	s_branch .LBB4_32
.LBB4_31:                               ;   in Loop: Header=BB4_32 Depth=1
	s_or_b32 exec_lo, exec_lo, s0
	s_add_i32 s2, s2, 1
	v_add_co_u32 v10, s0, v10, 4
	v_cmp_eq_u32_e32 vcc_lo, s2, v9
	v_add_co_ci_u32_e64 v11, null, 0, v11, s0
	s_or_b32 s11, vcc_lo, s11
	s_andn2_b32 exec_lo, exec_lo, s11
	s_cbranch_execz .LBB4_37
.LBB4_32:                               ; =>This Loop Header: Depth=1
                                        ;     Child Loop BB4_33 Depth 2
	s_ashr_i32 s3, s2, 31
	v_mov_b32_e32 v19, v11
	s_lshl_b64 s[6:7], s[2:3], 2
	s_add_i32 s3, s2, -1
	v_add_co_u32 v15, vcc_lo, v12, s6
	v_add_co_ci_u32_e64 v16, null, s7, v13, vcc_lo
	v_mov_b32_e32 v17, s3
	v_mov_b32_e32 v18, v10
	s_mov_b32 s14, 0
	global_load_dword v22, v[15:16], off offset:-4
	s_mov_b32 s15, s2
	s_waitcnt vmcnt(0)
	v_mov_b32_e32 v23, v22
.LBB4_33:                               ;   Parent Loop BB4_32 Depth=1
                                        ; =>  This Inner Loop Header: Depth=2
	global_load_dword v29, v[18:19], off
	v_add_co_u32 v18, s0, v18, 4
	v_add_co_ci_u32_e64 v19, null, 0, v19, s0
	s_waitcnt vmcnt(0)
	v_cmp_lt_f32_e32 vcc_lo, v29, v23
	v_cndmask_b32_e64 v17, v17, s15, vcc_lo
	s_add_i32 s15, s15, 1
	v_cndmask_b32_e32 v23, v23, v29, vcc_lo
	v_cmp_eq_u32_e32 vcc_lo, s15, v9
	s_or_b32 s14, vcc_lo, s14
	s_andn2_b32 exec_lo, exec_lo, s14
	s_cbranch_execnz .LBB4_33
; %bb.34:                               ;   in Loop: Header=BB4_32 Depth=1
	s_or_b32 exec_lo, exec_lo, s14
	s_mov_b32 s0, exec_lo
	v_cmpx_ne_u32_e64 s3, v17
	s_cbranch_execz .LBB4_31
; %bb.35:                               ;   in Loop: Header=BB4_32 Depth=1
	v_ashrrev_i32_e32 v18, 31, v17
	v_lshlrev_b64 v[17:18], 2, v[17:18]
	v_add_co_u32 v29, vcc_lo, v12, v17
	v_add_co_ci_u32_e64 v30, null, v13, v18, vcc_lo
	s_andn2_b32 vcc_lo, exec_lo, s10
	global_store_dword v[29:30], v22, off
	global_store_dword v[15:16], v23, off offset:-4
	s_cbranch_vccnz .LBB4_31
; %bb.36:                               ;   in Loop: Header=BB4_32 Depth=1
	v_add_co_u32 v15, vcc_lo, v20, s6
	v_add_co_ci_u32_e64 v16, null, s7, v21, vcc_lo
	v_add_co_u32 v17, vcc_lo, v20, v17
	v_add_co_ci_u32_e64 v18, null, v21, v18, vcc_lo
	s_clause 0x1
	global_load_dword v19, v[15:16], off offset:-4
	global_load_dword v22, v[17:18], off
	s_waitcnt vmcnt(1)
	global_store_dword v[17:18], v19, off
	s_waitcnt vmcnt(0)
	global_store_dword v[15:16], v22, off offset:-4
	s_branch .LBB4_31
.LBB4_37:
	s_or_b32 exec_lo, exec_lo, s1
	v_mov_b32_e32 v10, 0
	s_mov_b32 s6, exec_lo
	v_cmpx_lt_i32_e32 0, v9
	s_cbranch_execz .LBB4_52
; %bb.38:
	s_load_dwordx4 s[0:3], s[4:5], 0x18
	s_add_i32 s7, s38, -1
	v_ashrrev_i32_e32 v15, 31, v14
	v_mul_lo_u32 v10, v8, s7
	v_add_nc_u32_e32 v29, -1, v9
	v_lshlrev_b64 v[14:15], 2, v[14:15]
	v_ashrrev_i32_e32 v11, 31, v10
	v_lshlrev_b64 v[10:11], 2, v[10:11]
	s_waitcnt lgkmcnt(0)
	v_mad_i64_i32 v[16:17], null, v8, s3, 0
	s_ashr_i32 s5, s2, 31
	s_mov_b32 s4, s2
	v_add_co_u32 v8, vcc_lo, s30, v14
	s_lshl_b64 s[2:3], s[4:5], 2
	v_add_co_ci_u32_e64 v30, null, s31, v15, vcc_lo
	v_lshlrev_b64 v[16:17], 2, v[16:17]
	s_cmp_gt_i32 s38, 1
	v_add_co_u32 v14, vcc_lo, s28, v10
	v_add_co_ci_u32_e64 v15, null, s29, v11, vcc_lo
	s_cselect_b32 s10, -1, 0
	s_add_u32 s4, s0, s2
	v_add_co_u32 v10, vcc_lo, s0, v16
	s_addc_u32 s5, s1, s3
	v_add_co_ci_u32_e64 v11, null, s1, v17, vcc_lo
	v_add_co_u32 v18, vcc_lo, s4, v16
	v_add_co_ci_u32_e64 v19, null, s5, v17, vcc_lo
	v_add_co_u32 v16, vcc_lo, v10, s2
	;; [unrolled: 2-line block ×3, first 2 shown]
	v_add_co_ci_u32_e64 v19, null, 0, v19, vcc_lo
	v_mov_b32_e32 v10, 0
	s_mov_b32 s3, 0
	s_mov_b32 s1, 0
	;; [unrolled: 1-line block ×3, first 2 shown]
	s_branch .LBB4_41
.LBB4_39:                               ;   in Loop: Header=BB4_41 Depth=1
	s_or_b32 exec_lo, exec_lo, s0
.LBB4_40:                               ;   in Loop: Header=BB4_41 Depth=1
	s_or_b32 exec_lo, exec_lo, s11
	s_add_i32 s2, s2, 1
	v_cmp_eq_u32_e32 vcc_lo, s2, v9
	s_or_b32 s1, vcc_lo, s1
	s_andn2_b32 exec_lo, exec_lo, s1
	s_cbranch_execz .LBB4_51
.LBB4_41:                               ; =>This Loop Header: Depth=1
                                        ;     Child Loop BB4_43 Depth 2
                                        ;     Child Loop BB4_48 Depth 2
	s_lshl_b64 s[4:5], s[2:3], 2
	v_mov_b32_e32 v23, v13
	v_add_co_u32 v20, vcc_lo, v24, s4
	v_add_co_ci_u32_e64 v21, null, s5, v26, vcc_lo
	v_mov_b32_e32 v22, v12
	s_mov_b32 s11, s3
	s_mov_b32 s19, s3
	global_load_dword v31, v[20:21], off
                                        ; implicit-def: $sgpr14
                                        ; implicit-def: $sgpr18
                                        ; implicit-def: $sgpr15
	s_inst_prefetch 0x1
	s_branch .LBB4_43
	.p2align	6
.LBB4_42:                               ;   in Loop: Header=BB4_43 Depth=2
	s_or_b32 exec_lo, exec_lo, s21
	s_and_b32 s0, exec_lo, s18
	v_mov_b32_e32 v32, s19
	s_or_b32 s11, s0, s11
	s_andn2_b32 s0, s14, exec_lo
	s_and_b32 s14, s15, exec_lo
	s_mov_b32 s19, s20
	s_or_b32 s14, s0, s14
	s_andn2_b32 exec_lo, exec_lo, s11
	s_cbranch_execz .LBB4_45
.LBB4_43:                               ;   Parent Loop BB4_41 Depth=1
                                        ; =>  This Inner Loop Header: Depth=2
	global_load_dword v11, v[22:23], off
	v_mov_b32_e32 v20, v22
	v_mov_b32_e32 v21, v23
	s_or_b32 s15, s15, exec_lo
	s_or_b32 s18, s18, exec_lo
	s_mov_b32 s21, exec_lo
                                        ; implicit-def: $sgpr20
                                        ; implicit-def: $vgpr22_vgpr23
	s_waitcnt vmcnt(0)
	v_cmpx_neq_f32_e32 v31, v11
	s_cbranch_execz .LBB4_42
; %bb.44:                               ;   in Loop: Header=BB4_43 Depth=2
	s_add_i32 s20, s19, 1
	v_add_co_u32 v22, s0, v20, 4
	v_cmp_eq_u32_e32 vcc_lo, s20, v9
	v_add_co_ci_u32_e64 v23, null, 0, v21, s0
	s_andn2_b32 s0, s18, exec_lo
	s_andn2_b32 s15, s15, exec_lo
	s_and_b32 s18, vcc_lo, exec_lo
	s_or_b32 s18, s0, s18
	s_branch .LBB4_42
.LBB4_45:                               ;   in Loop: Header=BB4_41 Depth=1
	s_inst_prefetch 0x2
	s_or_b32 exec_lo, exec_lo, s11
	s_and_saveexec_b32 s0, s14
	s_xor_b32 s11, exec_lo, s0
	s_cbranch_execz .LBB4_40
; %bb.46:                               ;   in Loop: Header=BB4_41 Depth=1
	v_cmp_eq_u32_e32 vcc_lo, v32, v29
	v_cndmask_b32_e32 v21, v21, v30, vcc_lo
	v_cndmask_b32_e32 v20, v20, v8, vcc_lo
	s_andn2_b32 vcc_lo, exec_lo, s10
	global_load_dword v20, v[20:21], off offset:4
	global_load_dword v21, v[16:17], off
	s_waitcnt vmcnt(1)
	v_sub_f32_e32 v11, v20, v11
	v_fma_f32 v32, 0.5, v11, v31
	s_waitcnt vmcnt(0)
	v_sub_f32_e32 v22, v21, v32
	v_cmp_le_f32_e64 s0, v22, v25
	v_cndmask_b32_e64 v11, 0, 1, s0
	s_cbranch_vccnz .LBB4_49
; %bb.47:                               ;   in Loop: Header=BB4_41 Depth=1
	v_cmp_gt_f32_e64 s14, v22, -v25
	v_mov_b32_e32 v21, v15
	v_mov_b32_e32 v20, v14
	s_and_b32 s0, s0, s14
	s_mov_b32 s14, s7
	v_cndmask_b32_e64 v33, v22, -v25, s0
	v_mov_b32_e32 v23, v19
	v_mov_b32_e32 v22, v18
	s_inst_prefetch 0x1
	.p2align	6
.LBB4_48:                               ;   Parent Loop BB4_41 Depth=1
                                        ; =>  This Inner Loop Header: Depth=2
	global_load_dword v34, v[20:21], off
	global_load_dword v35, v[22:23], off
	s_add_i32 s14, s14, -1
	s_waitcnt vmcnt(1)
	v_div_scale_f32 v36, null, v33, v33, v34
	v_div_scale_f32 v39, vcc_lo, v34, v33, v34
	s_waitcnt vmcnt(0)
	v_sub_f32_e32 v35, v35, v32
	v_rcp_f32_e32 v37, v36
	v_fma_f32 v38, -v36, v37, 1.0
	v_fmac_f32_e32 v37, v38, v37
	v_mul_f32_e32 v38, v39, v37
	v_fma_f32 v40, -v36, v38, v39
	v_fmac_f32_e32 v38, v40, v37
	v_fma_f32 v36, -v36, v38, v39
	v_div_fmas_f32 v36, v36, v37, v38
	v_add_co_u32 v22, vcc_lo, v22, 4
	v_add_co_ci_u32_e64 v23, null, 0, v23, vcc_lo
	v_div_fixup_f32 v33, v36, v33, v34
	v_add_co_u32 v20, vcc_lo, v20, 4
	v_add_co_ci_u32_e64 v21, null, 0, v21, vcc_lo
	v_sub_f32_e32 v33, v35, v33
	v_cmp_le_f32_e64 s0, v33, v25
	v_cmp_gt_f32_e64 s15, v33, -v25
	v_add_co_ci_u32_e64 v11, null, 0, v11, s0
	s_and_b32 s0, s0, s15
	s_cmp_lg_u32 s14, 0
	v_cndmask_b32_e64 v33, v33, -v25, s0
	s_cbranch_scc1 .LBB4_48
.LBB4_49:                               ;   in Loop: Header=BB4_41 Depth=1
	s_inst_prefetch 0x2
	v_cmp_le_i32_e32 vcc_lo, s39, v11
	v_cmp_ge_i32_e64 s0, s33, v11
	s_and_b32 s14, vcc_lo, s0
	s_and_saveexec_b32 s0, s14
	s_cbranch_execz .LBB4_39
; %bb.50:                               ;   in Loop: Header=BB4_41 Depth=1
	v_add_co_u32 v20, vcc_lo, v27, s4
	v_add_co_ci_u32_e64 v21, null, s5, v28, vcc_lo
	v_ashrrev_i32_e32 v11, 31, v10
	global_load_dword v32, v[20:21], off
	v_lshlrev_b64 v[20:21], 2, v[10:11]
	v_add_nc_u32_e32 v10, 1, v10
	v_add_co_u32 v22, vcc_lo, v0, v20
	v_add_co_ci_u32_e64 v23, null, v1, v21, vcc_lo
	v_add_co_u32 v20, vcc_lo, v2, v20
	v_add_co_ci_u32_e64 v21, null, v3, v21, vcc_lo
	global_store_dword v[22:23], v31, off
	s_waitcnt vmcnt(0)
	global_store_dword v[20:21], v32, off
	s_branch .LBB4_39
.LBB4_51:
	s_or_b32 exec_lo, exec_lo, s1
.LBB4_52:
	s_or_b32 exec_lo, exec_lo, s6
.LBB4_53:
	v_add_co_u32 v4, vcc_lo, s8, v4
	v_add_co_ci_u32_e64 v5, null, s9, v5, vcc_lo
	v_cmp_lt_i32_e32 vcc_lo, 1, v10
	s_cmpk_eq_i32 s37, 0xf2
	s_mov_b32 s2, 1
	s_cselect_b32 s0, -1, 0
	global_store_dword v[4:5], v10, off
	s_and_b32 s0, s0, vcc_lo
	s_and_b32 exec_lo, exec_lo, s0
	s_cbranch_execz .LBB4_61
; %bb.54:
	v_add_co_u32 v4, vcc_lo, s12, v6
	v_add_co_ci_u32_e64 v5, null, s13, v7, vcc_lo
	s_cmp_lg_u64 s[16:17], 0
	v_add_co_u32 v4, vcc_lo, v4, 4
	v_add_co_ci_u32_e64 v5, null, 0, v5, vcc_lo
	s_cselect_b32 s1, -1, 0
	s_mov_b32 s6, 0
	s_branch .LBB4_56
.LBB4_55:                               ;   in Loop: Header=BB4_56 Depth=1
	s_or_b32 exec_lo, exec_lo, s0
	s_add_i32 s2, s2, 1
	v_add_co_u32 v4, s0, v4, 4
	v_cmp_eq_u32_e32 vcc_lo, s2, v10
	v_add_co_ci_u32_e64 v5, null, 0, v5, s0
	s_or_b32 s6, vcc_lo, s6
	s_andn2_b32 exec_lo, exec_lo, s6
	s_cbranch_execz .LBB4_61
.LBB4_56:                               ; =>This Loop Header: Depth=1
                                        ;     Child Loop BB4_57 Depth 2
	s_ashr_i32 s3, s2, 31
	v_mov_b32_e32 v12, v5
	s_lshl_b64 s[4:5], s[2:3], 2
	s_add_i32 s3, s2, -1
	v_add_co_u32 v6, vcc_lo, v0, s4
	v_add_co_ci_u32_e64 v7, null, s5, v1, vcc_lo
	v_mov_b32_e32 v8, s3
	v_mov_b32_e32 v11, v4
	s_mov_b32 s7, 0
	global_load_dword v13, v[6:7], off offset:-4
	s_mov_b32 s8, s2
	s_waitcnt vmcnt(0)
	v_mov_b32_e32 v14, v13
.LBB4_57:                               ;   Parent Loop BB4_56 Depth=1
                                        ; =>  This Inner Loop Header: Depth=2
	global_load_dword v9, v[11:12], off
	v_add_co_u32 v11, s0, v11, 4
	v_add_co_ci_u32_e64 v12, null, 0, v12, s0
	s_waitcnt vmcnt(0)
	v_cmp_lt_f32_e32 vcc_lo, v9, v14
	v_cndmask_b32_e64 v8, v8, s8, vcc_lo
	s_add_i32 s8, s8, 1
	v_cndmask_b32_e32 v14, v14, v9, vcc_lo
	v_cmp_eq_u32_e32 vcc_lo, s8, v10
	s_or_b32 s7, vcc_lo, s7
	s_andn2_b32 exec_lo, exec_lo, s7
	s_cbranch_execnz .LBB4_57
; %bb.58:                               ;   in Loop: Header=BB4_56 Depth=1
	s_or_b32 exec_lo, exec_lo, s7
	s_mov_b32 s0, exec_lo
	v_cmpx_ne_u32_e64 s3, v8
	s_cbranch_execz .LBB4_55
; %bb.59:                               ;   in Loop: Header=BB4_56 Depth=1
	v_ashrrev_i32_e32 v9, 31, v8
	v_lshlrev_b64 v[8:9], 2, v[8:9]
	v_add_co_u32 v11, vcc_lo, v0, v8
	v_add_co_ci_u32_e64 v12, null, v1, v9, vcc_lo
	s_andn2_b32 vcc_lo, exec_lo, s1
	global_store_dword v[11:12], v13, off
	global_store_dword v[6:7], v14, off offset:-4
	s_cbranch_vccnz .LBB4_55
; %bb.60:                               ;   in Loop: Header=BB4_56 Depth=1
	v_add_co_u32 v6, vcc_lo, v2, s4
	v_add_co_ci_u32_e64 v7, null, s5, v3, vcc_lo
	v_add_co_u32 v8, vcc_lo, v2, v8
	v_add_co_ci_u32_e64 v9, null, v3, v9, vcc_lo
	s_clause 0x1
	global_load_dword v11, v[6:7], off offset:-4
	global_load_dword v12, v[8:9], off
	s_waitcnt vmcnt(1)
	global_store_dword v[8:9], v11, off
	s_waitcnt vmcnt(0)
	global_store_dword v[6:7], v12, off offset:-4
	s_branch .LBB4_55
.LBB4_61:
	s_endpgm
	.section	.rodata,"a",@progbits
	.p2align	6, 0x0
	.amdhsa_kernel _ZN9rocsolver6v33100L22stebz_synthesis_kernelIfPfEEv15rocblas_erange_15rocblas_eorder_iiiT0_iiPiS6_PT_lS6_lS6_liS6_S8_S8_S8_S8_S6_S7_
		.amdhsa_group_segment_fixed_size 0
		.amdhsa_private_segment_fixed_size 0
		.amdhsa_kernarg_size 424
		.amdhsa_user_sgpr_count 6
		.amdhsa_user_sgpr_private_segment_buffer 1
		.amdhsa_user_sgpr_dispatch_ptr 0
		.amdhsa_user_sgpr_queue_ptr 0
		.amdhsa_user_sgpr_kernarg_segment_ptr 1
		.amdhsa_user_sgpr_dispatch_id 0
		.amdhsa_user_sgpr_flat_scratch_init 0
		.amdhsa_user_sgpr_private_segment_size 0
		.amdhsa_wavefront_size32 1
		.amdhsa_uses_dynamic_stack 0
		.amdhsa_system_sgpr_private_segment_wavefront_offset 0
		.amdhsa_system_sgpr_workgroup_id_x 1
		.amdhsa_system_sgpr_workgroup_id_y 0
		.amdhsa_system_sgpr_workgroup_id_z 0
		.amdhsa_system_sgpr_workgroup_info 0
		.amdhsa_system_vgpr_workitem_id 0
		.amdhsa_next_free_vgpr 42
		.amdhsa_next_free_sgpr 40
		.amdhsa_reserve_vcc 1
		.amdhsa_reserve_flat_scratch 0
		.amdhsa_float_round_mode_32 0
		.amdhsa_float_round_mode_16_64 0
		.amdhsa_float_denorm_mode_32 3
		.amdhsa_float_denorm_mode_16_64 3
		.amdhsa_dx10_clamp 1
		.amdhsa_ieee_mode 1
		.amdhsa_fp16_overflow 0
		.amdhsa_workgroup_processor_mode 1
		.amdhsa_memory_ordered 1
		.amdhsa_forward_progress 1
		.amdhsa_shared_vgpr_count 0
		.amdhsa_exception_fp_ieee_invalid_op 0
		.amdhsa_exception_fp_denorm_src 0
		.amdhsa_exception_fp_ieee_div_zero 0
		.amdhsa_exception_fp_ieee_overflow 0
		.amdhsa_exception_fp_ieee_underflow 0
		.amdhsa_exception_fp_ieee_inexact 0
		.amdhsa_exception_int_div_zero 0
	.end_amdhsa_kernel
	.section	.text._ZN9rocsolver6v33100L22stebz_synthesis_kernelIfPfEEv15rocblas_erange_15rocblas_eorder_iiiT0_iiPiS6_PT_lS6_lS6_liS6_S8_S8_S8_S8_S6_S7_,"axG",@progbits,_ZN9rocsolver6v33100L22stebz_synthesis_kernelIfPfEEv15rocblas_erange_15rocblas_eorder_iiiT0_iiPiS6_PT_lS6_lS6_liS6_S8_S8_S8_S8_S6_S7_,comdat
.Lfunc_end4:
	.size	_ZN9rocsolver6v33100L22stebz_synthesis_kernelIfPfEEv15rocblas_erange_15rocblas_eorder_iiiT0_iiPiS6_PT_lS6_lS6_liS6_S8_S8_S8_S8_S6_S7_, .Lfunc_end4-_ZN9rocsolver6v33100L22stebz_synthesis_kernelIfPfEEv15rocblas_erange_15rocblas_eorder_iiiT0_iiPiS6_PT_lS6_lS6_liS6_S8_S8_S8_S8_S6_S7_
                                        ; -- End function
	.set _ZN9rocsolver6v33100L22stebz_synthesis_kernelIfPfEEv15rocblas_erange_15rocblas_eorder_iiiT0_iiPiS6_PT_lS6_lS6_liS6_S8_S8_S8_S8_S6_S7_.num_vgpr, 42
	.set _ZN9rocsolver6v33100L22stebz_synthesis_kernelIfPfEEv15rocblas_erange_15rocblas_eorder_iiiT0_iiPiS6_PT_lS6_lS6_liS6_S8_S8_S8_S8_S6_S7_.num_agpr, 0
	.set _ZN9rocsolver6v33100L22stebz_synthesis_kernelIfPfEEv15rocblas_erange_15rocblas_eorder_iiiT0_iiPiS6_PT_lS6_lS6_liS6_S8_S8_S8_S8_S6_S7_.numbered_sgpr, 40
	.set _ZN9rocsolver6v33100L22stebz_synthesis_kernelIfPfEEv15rocblas_erange_15rocblas_eorder_iiiT0_iiPiS6_PT_lS6_lS6_liS6_S8_S8_S8_S8_S6_S7_.num_named_barrier, 0
	.set _ZN9rocsolver6v33100L22stebz_synthesis_kernelIfPfEEv15rocblas_erange_15rocblas_eorder_iiiT0_iiPiS6_PT_lS6_lS6_liS6_S8_S8_S8_S8_S6_S7_.private_seg_size, 0
	.set _ZN9rocsolver6v33100L22stebz_synthesis_kernelIfPfEEv15rocblas_erange_15rocblas_eorder_iiiT0_iiPiS6_PT_lS6_lS6_liS6_S8_S8_S8_S8_S6_S7_.uses_vcc, 1
	.set _ZN9rocsolver6v33100L22stebz_synthesis_kernelIfPfEEv15rocblas_erange_15rocblas_eorder_iiiT0_iiPiS6_PT_lS6_lS6_liS6_S8_S8_S8_S8_S6_S7_.uses_flat_scratch, 0
	.set _ZN9rocsolver6v33100L22stebz_synthesis_kernelIfPfEEv15rocblas_erange_15rocblas_eorder_iiiT0_iiPiS6_PT_lS6_lS6_liS6_S8_S8_S8_S8_S6_S7_.has_dyn_sized_stack, 0
	.set _ZN9rocsolver6v33100L22stebz_synthesis_kernelIfPfEEv15rocblas_erange_15rocblas_eorder_iiiT0_iiPiS6_PT_lS6_lS6_liS6_S8_S8_S8_S8_S6_S7_.has_recursion, 0
	.set _ZN9rocsolver6v33100L22stebz_synthesis_kernelIfPfEEv15rocblas_erange_15rocblas_eorder_iiiT0_iiPiS6_PT_lS6_lS6_liS6_S8_S8_S8_S8_S6_S7_.has_indirect_call, 0
	.section	.AMDGPU.csdata,"",@progbits
; Kernel info:
; codeLenInByte = 3300
; TotalNumSgprs: 42
; NumVgprs: 42
; ScratchSize: 0
; MemoryBound: 0
; FloatMode: 240
; IeeeMode: 1
; LDSByteSize: 0 bytes/workgroup (compile time only)
; SGPRBlocks: 0
; VGPRBlocks: 5
; NumSGPRsForWavesPerEU: 42
; NumVGPRsForWavesPerEU: 42
; Occupancy: 16
; WaveLimiterHint : 1
; COMPUTE_PGM_RSRC2:SCRATCH_EN: 0
; COMPUTE_PGM_RSRC2:USER_SGPR: 6
; COMPUTE_PGM_RSRC2:TRAP_HANDLER: 0
; COMPUTE_PGM_RSRC2:TGID_X_EN: 1
; COMPUTE_PGM_RSRC2:TGID_Y_EN: 0
; COMPUTE_PGM_RSRC2:TGID_Z_EN: 0
; COMPUTE_PGM_RSRC2:TIDIG_COMP_CNT: 0
	.section	.text._ZN9rocsolver6v33100L18stebz_case1_kernelIdPdEEv15rocblas_erange_T_S4_T0_ilPiS6_PS4_lS6_lS6_li,"axG",@progbits,_ZN9rocsolver6v33100L18stebz_case1_kernelIdPdEEv15rocblas_erange_T_S4_T0_ilPiS6_PS4_lS6_lS6_li,comdat
	.globl	_ZN9rocsolver6v33100L18stebz_case1_kernelIdPdEEv15rocblas_erange_T_S4_T0_ilPiS6_PS4_lS6_lS6_li ; -- Begin function _ZN9rocsolver6v33100L18stebz_case1_kernelIdPdEEv15rocblas_erange_T_S4_T0_ilPiS6_PS4_lS6_lS6_li
	.p2align	8
	.type	_ZN9rocsolver6v33100L18stebz_case1_kernelIdPdEEv15rocblas_erange_T_S4_T0_ilPiS6_PS4_lS6_lS6_li,@function
_ZN9rocsolver6v33100L18stebz_case1_kernelIdPdEEv15rocblas_erange_T_S4_T0_ilPiS6_PS4_lS6_lS6_li: ; @_ZN9rocsolver6v33100L18stebz_case1_kernelIdPdEEv15rocblas_erange_T_S4_T0_ilPiS6_PS4_lS6_lS6_li
; %bb.0:
	s_clause 0x1
	s_load_dword s0, s[4:5], 0x84
	s_load_dword s1, s[4:5], 0x70
	s_waitcnt lgkmcnt(0)
	s_and_b32 s0, s0, 0xffff
	v_mad_u64_u32 v[0:1], null, s6, s0, v[0:1]
	s_mov_b32 s0, exec_lo
	v_cmpx_gt_i32_e64 s1, v0
	s_cbranch_execz .LBB5_7
; %bb.1:
	s_load_dwordx16 s[8:23], s[4:5], 0x28
	v_ashrrev_i32_e32 v1, 31, v0
	s_clause 0x1
	s_load_dwordx2 s[0:1], s[4:5], 0x18
	s_load_dword s2, s[4:5], 0x20
	v_mov_b32_e32 v10, 1
	s_waitcnt lgkmcnt(0)
	v_mul_lo_u32 v4, s9, v0
	v_mul_lo_u32 v5, s8, v1
	v_mad_u64_u32 v[2:3], null, s8, v0, 0
	s_ashr_i32 s3, s2, 31
	v_add3_u32 v3, v3, v5, v4
	v_lshlrev_b64 v[2:3], 3, v[2:3]
	v_add_co_u32 v2, vcc_lo, s0, v2
	v_add_co_ci_u32_e64 v3, null, s1, v3, vcc_lo
	s_lshl_b64 s[0:1], s[2:3], 3
	v_add_co_u32 v2, vcc_lo, v2, s0
	v_add_co_ci_u32_e64 v3, null, s1, v3, vcc_lo
	s_load_dwordx2 s[0:1], s[4:5], 0x68
	global_load_dwordx2 v[4:5], v[2:3], off
	s_waitcnt lgkmcnt(0)
	v_mul_lo_u32 v2, s1, v0
	v_mul_lo_u32 v3, s0, v1
	v_mad_u64_u32 v[6:7], null, s0, v0, 0
	s_load_dword s0, s[4:5], 0x0
	v_add3_u32 v7, v7, v3, v2
	v_lshlrev_b64 v[2:3], 2, v[0:1]
	v_lshlrev_b64 v[6:7], 2, v[6:7]
	v_add_co_u32 v8, vcc_lo, s12, v2
	v_add_co_ci_u32_e64 v9, null, s13, v3, vcc_lo
	v_add_co_u32 v6, vcc_lo, s22, v6
	v_add_co_ci_u32_e64 v7, null, s23, v7, vcc_lo
	s_waitcnt lgkmcnt(0)
	s_cmpk_lg_i32 s0, 0xe8
	global_store_dword v[8:9], v10, off
	s_cselect_b32 s1, -1, 0
	global_store_dword v[6:7], v10, off
	s_and_b32 vcc_lo, exec_lo, s1
	s_cbranch_vccnz .LBB5_3
; %bb.2:
	s_load_dwordx4 s[4:7], s[4:5], 0x8
	s_andn2_b32 s1, s1, exec_lo
	s_waitcnt vmcnt(0) lgkmcnt(0)
	v_cmp_nge_f64_e32 vcc_lo, s[4:5], v[4:5]
	v_cmp_nlt_f64_e64 s0, s[6:7], v[4:5]
	s_and_b32 s0, vcc_lo, s0
	s_and_b32 s2, s0, exec_lo
	s_mov_b32 s0, -1
	s_or_b32 s1, s1, s2
	s_and_saveexec_b32 s2, s1
	s_xor_b32 s1, exec_lo, s2
	s_cbranch_execnz .LBB5_4
	s_branch .LBB5_5
.LBB5_3:
	s_mov_b32 s0, 0
	s_and_saveexec_b32 s2, s1
	s_xor_b32 s1, exec_lo, s2
	s_cbranch_execz .LBB5_5
.LBB5_4:
	v_mul_lo_u32 v8, s17, v0
	v_mul_lo_u32 v9, s16, v1
	v_mad_u64_u32 v[6:7], null, s16, v0, 0
	v_mul_lo_u32 v10, s21, v0
	v_mul_lo_u32 v11, s20, v1
	v_mad_u64_u32 v[0:1], null, s20, v0, 0
	s_andn2_b32 s0, s0, exec_lo
	v_add3_u32 v7, v7, v9, v8
	v_add_co_u32 v8, vcc_lo, s10, v2
	v_add_co_ci_u32_e64 v9, null, s11, v3, vcc_lo
	v_add3_u32 v1, v1, v11, v10
	v_lshlrev_b64 v[6:7], 3, v[6:7]
	v_mov_b32_e32 v10, 1
	v_lshlrev_b64 v[0:1], 2, v[0:1]
	v_add_co_u32 v6, vcc_lo, s14, v6
	v_add_co_ci_u32_e64 v7, null, s15, v7, vcc_lo
	v_add_co_u32 v0, vcc_lo, s18, v0
	v_add_co_ci_u32_e64 v1, null, s19, v1, vcc_lo
	global_store_dword v[8:9], v10, off
	s_waitcnt vmcnt(0)
	global_store_dwordx2 v[6:7], v[4:5], off
	global_store_dword v[0:1], v10, off
.LBB5_5:
	s_or_b32 exec_lo, exec_lo, s1
	s_and_b32 exec_lo, exec_lo, s0
	s_cbranch_execz .LBB5_7
; %bb.6:
	v_add_co_u32 v0, vcc_lo, s10, v2
	v_add_co_ci_u32_e64 v1, null, s11, v3, vcc_lo
	v_mov_b32_e32 v2, 0
	global_store_dword v[0:1], v2, off
.LBB5_7:
	s_endpgm
	.section	.rodata,"a",@progbits
	.p2align	6, 0x0
	.amdhsa_kernel _ZN9rocsolver6v33100L18stebz_case1_kernelIdPdEEv15rocblas_erange_T_S4_T0_ilPiS6_PS4_lS6_lS6_li
		.amdhsa_group_segment_fixed_size 0
		.amdhsa_private_segment_fixed_size 0
		.amdhsa_kernarg_size 376
		.amdhsa_user_sgpr_count 6
		.amdhsa_user_sgpr_private_segment_buffer 1
		.amdhsa_user_sgpr_dispatch_ptr 0
		.amdhsa_user_sgpr_queue_ptr 0
		.amdhsa_user_sgpr_kernarg_segment_ptr 1
		.amdhsa_user_sgpr_dispatch_id 0
		.amdhsa_user_sgpr_flat_scratch_init 0
		.amdhsa_user_sgpr_private_segment_size 0
		.amdhsa_wavefront_size32 1
		.amdhsa_uses_dynamic_stack 0
		.amdhsa_system_sgpr_private_segment_wavefront_offset 0
		.amdhsa_system_sgpr_workgroup_id_x 1
		.amdhsa_system_sgpr_workgroup_id_y 0
		.amdhsa_system_sgpr_workgroup_id_z 0
		.amdhsa_system_sgpr_workgroup_info 0
		.amdhsa_system_vgpr_workitem_id 0
		.amdhsa_next_free_vgpr 12
		.amdhsa_next_free_sgpr 24
		.amdhsa_reserve_vcc 1
		.amdhsa_reserve_flat_scratch 0
		.amdhsa_float_round_mode_32 0
		.amdhsa_float_round_mode_16_64 0
		.amdhsa_float_denorm_mode_32 3
		.amdhsa_float_denorm_mode_16_64 3
		.amdhsa_dx10_clamp 1
		.amdhsa_ieee_mode 1
		.amdhsa_fp16_overflow 0
		.amdhsa_workgroup_processor_mode 1
		.amdhsa_memory_ordered 1
		.amdhsa_forward_progress 1
		.amdhsa_shared_vgpr_count 0
		.amdhsa_exception_fp_ieee_invalid_op 0
		.amdhsa_exception_fp_denorm_src 0
		.amdhsa_exception_fp_ieee_div_zero 0
		.amdhsa_exception_fp_ieee_overflow 0
		.amdhsa_exception_fp_ieee_underflow 0
		.amdhsa_exception_fp_ieee_inexact 0
		.amdhsa_exception_int_div_zero 0
	.end_amdhsa_kernel
	.section	.text._ZN9rocsolver6v33100L18stebz_case1_kernelIdPdEEv15rocblas_erange_T_S4_T0_ilPiS6_PS4_lS6_lS6_li,"axG",@progbits,_ZN9rocsolver6v33100L18stebz_case1_kernelIdPdEEv15rocblas_erange_T_S4_T0_ilPiS6_PS4_lS6_lS6_li,comdat
.Lfunc_end5:
	.size	_ZN9rocsolver6v33100L18stebz_case1_kernelIdPdEEv15rocblas_erange_T_S4_T0_ilPiS6_PS4_lS6_lS6_li, .Lfunc_end5-_ZN9rocsolver6v33100L18stebz_case1_kernelIdPdEEv15rocblas_erange_T_S4_T0_ilPiS6_PS4_lS6_lS6_li
                                        ; -- End function
	.set _ZN9rocsolver6v33100L18stebz_case1_kernelIdPdEEv15rocblas_erange_T_S4_T0_ilPiS6_PS4_lS6_lS6_li.num_vgpr, 12
	.set _ZN9rocsolver6v33100L18stebz_case1_kernelIdPdEEv15rocblas_erange_T_S4_T0_ilPiS6_PS4_lS6_lS6_li.num_agpr, 0
	.set _ZN9rocsolver6v33100L18stebz_case1_kernelIdPdEEv15rocblas_erange_T_S4_T0_ilPiS6_PS4_lS6_lS6_li.numbered_sgpr, 24
	.set _ZN9rocsolver6v33100L18stebz_case1_kernelIdPdEEv15rocblas_erange_T_S4_T0_ilPiS6_PS4_lS6_lS6_li.num_named_barrier, 0
	.set _ZN9rocsolver6v33100L18stebz_case1_kernelIdPdEEv15rocblas_erange_T_S4_T0_ilPiS6_PS4_lS6_lS6_li.private_seg_size, 0
	.set _ZN9rocsolver6v33100L18stebz_case1_kernelIdPdEEv15rocblas_erange_T_S4_T0_ilPiS6_PS4_lS6_lS6_li.uses_vcc, 1
	.set _ZN9rocsolver6v33100L18stebz_case1_kernelIdPdEEv15rocblas_erange_T_S4_T0_ilPiS6_PS4_lS6_lS6_li.uses_flat_scratch, 0
	.set _ZN9rocsolver6v33100L18stebz_case1_kernelIdPdEEv15rocblas_erange_T_S4_T0_ilPiS6_PS4_lS6_lS6_li.has_dyn_sized_stack, 0
	.set _ZN9rocsolver6v33100L18stebz_case1_kernelIdPdEEv15rocblas_erange_T_S4_T0_ilPiS6_PS4_lS6_lS6_li.has_recursion, 0
	.set _ZN9rocsolver6v33100L18stebz_case1_kernelIdPdEEv15rocblas_erange_T_S4_T0_ilPiS6_PS4_lS6_lS6_li.has_indirect_call, 0
	.section	.AMDGPU.csdata,"",@progbits
; Kernel info:
; codeLenInByte = 604
; TotalNumSgprs: 26
; NumVgprs: 12
; ScratchSize: 0
; MemoryBound: 0
; FloatMode: 240
; IeeeMode: 1
; LDSByteSize: 0 bytes/workgroup (compile time only)
; SGPRBlocks: 0
; VGPRBlocks: 1
; NumSGPRsForWavesPerEU: 26
; NumVGPRsForWavesPerEU: 12
; Occupancy: 16
; WaveLimiterHint : 0
; COMPUTE_PGM_RSRC2:SCRATCH_EN: 0
; COMPUTE_PGM_RSRC2:USER_SGPR: 6
; COMPUTE_PGM_RSRC2:TRAP_HANDLER: 0
; COMPUTE_PGM_RSRC2:TGID_X_EN: 1
; COMPUTE_PGM_RSRC2:TGID_Y_EN: 0
; COMPUTE_PGM_RSRC2:TGID_Z_EN: 0
; COMPUTE_PGM_RSRC2:TIDIG_COMP_CNT: 0
	.section	.text._ZN9rocsolver6v33100L22stebz_splitting_kernelIdPdEEv15rocblas_erange_iT_S4_iiT0_iiS5_iiPiPS4_lS6_lS6_S7_S7_S7_S7_S6_S4_S4_,"axG",@progbits,_ZN9rocsolver6v33100L22stebz_splitting_kernelIdPdEEv15rocblas_erange_iT_S4_iiT0_iiS5_iiPiPS4_lS6_lS6_S7_S7_S7_S7_S6_S4_S4_,comdat
	.globl	_ZN9rocsolver6v33100L22stebz_splitting_kernelIdPdEEv15rocblas_erange_iT_S4_iiT0_iiS5_iiPiPS4_lS6_lS6_S7_S7_S7_S7_S6_S4_S4_ ; -- Begin function _ZN9rocsolver6v33100L22stebz_splitting_kernelIdPdEEv15rocblas_erange_iT_S4_iiT0_iiS5_iiPiPS4_lS6_lS6_S7_S7_S7_S7_S6_S4_S4_
	.p2align	8
	.type	_ZN9rocsolver6v33100L22stebz_splitting_kernelIdPdEEv15rocblas_erange_iT_S4_iiT0_iiS5_iiPiPS4_lS6_lS6_S7_S7_S7_S7_S6_S4_S4_,@function
_ZN9rocsolver6v33100L22stebz_splitting_kernelIdPdEEv15rocblas_erange_iT_S4_iiT0_iiS5_iiPiPS4_lS6_lS6_S7_S7_S7_S7_S6_S4_S4_: ; @_ZN9rocsolver6v33100L22stebz_splitting_kernelIdPdEEv15rocblas_erange_iT_S4_iiT0_iiS5_iiPiPS4_lS6_lS6_S7_S7_S7_S7_S6_S4_S4_
; %bb.0:
	s_mov_b32 s34, s7
	s_load_dwordx2 s[6:7], s[4:5], 0x0
	v_lshlrev_b32_e32 v1, 2, v0
	v_mov_b32_e32 v3, 0
	v_add_nc_u32_e32 v20, -1, v0
	s_waitcnt lgkmcnt(0)
	s_add_i32 s33, s7, -1
	s_ashr_i32 s0, s33, 31
	s_lshr_b32 s0, s0, 24
	s_add_i32 s0, s33, s0
	s_and_b32 s1, s0, 0xffffff00
	s_ashr_i32 s0, s0, 8
	s_sub_i32 s1, s33, s1
	v_cmp_gt_i32_e32 vcc_lo, s1, v0
	v_add_co_ci_u32_e64 v21, null, s0, 0, vcc_lo
	v_cmp_eq_u32_e64 s0, 0, v0
	v_cmp_ne_u32_e32 vcc_lo, 0, v0
	ds_write_b32 v1, v21 offset:2048
	s_waitcnt lgkmcnt(0)
	s_barrier
	buffer_gl0_inv
	s_and_saveexec_b32 s2, vcc_lo
	s_cbranch_execz .LBB6_10
; %bb.1:
	v_mov_b32_e32 v3, 0
	v_mov_b32_e32 v2, 0
	s_mov_b32 s3, exec_lo
	v_cmpx_lt_u32_e32 6, v20
	s_cbranch_execz .LBB6_5
; %bb.2:
	v_and_b32_e32 v2, 0xf8, v0
	v_mov_b32_e32 v3, 0
	s_movk_i32 s9, 0x800
	s_mov_b32 s8, 0
	s_mov_b32 s10, 0
	.p2align	6
.LBB6_3:                                ; =>This Inner Loop Header: Depth=1
	v_mov_b32_e32 v8, s9
	s_add_i32 s10, s10, 8
	s_add_i32 s9, s9, 32
	v_cmp_eq_u32_e64 s1, s10, v2
	ds_read_b128 v[4:7], v8
	ds_read_b128 v[8:11], v8 offset:16
	s_or_b32 s8, s1, s8
	s_waitcnt lgkmcnt(1)
	v_add_nc_u32_e32 v3, v4, v3
	v_add_nc_u32_e32 v3, v5, v3
	;; [unrolled: 1-line block ×4, first 2 shown]
	s_waitcnt lgkmcnt(0)
	v_add_nc_u32_e32 v3, v8, v3
	v_add_nc_u32_e32 v3, v9, v3
	;; [unrolled: 1-line block ×4, first 2 shown]
	s_andn2_b32 exec_lo, exec_lo, s8
	s_cbranch_execnz .LBB6_3
; %bb.4:
	s_or_b32 exec_lo, exec_lo, s8
.LBB6_5:
	s_or_b32 exec_lo, exec_lo, s3
	v_and_b32_e32 v4, 7, v0
	s_mov_b32 s8, 0
	s_mov_b32 s3, exec_lo
	v_cmpx_ne_u32_e32 0, v4
	s_cbranch_execz .LBB6_9
; %bb.6:
	v_lshl_or_b32 v2, v2, 2, 0x800
.LBB6_7:                                ; =>This Inner Loop Header: Depth=1
	ds_read_b32 v5, v2
	v_add_nc_u32_e32 v4, -1, v4
	v_add_nc_u32_e32 v2, 4, v2
	v_cmp_eq_u32_e64 s1, 0, v4
	s_or_b32 s8, s1, s8
	s_waitcnt lgkmcnt(0)
	v_add_nc_u32_e32 v3, v5, v3
	s_andn2_b32 exec_lo, exec_lo, s8
	s_cbranch_execnz .LBB6_7
; %bb.8:
	s_or_b32 exec_lo, exec_lo, s8
.LBB6_9:
	s_or_b32 exec_lo, exec_lo, s3
.LBB6_10:
	s_or_b32 exec_lo, exec_lo, s2
	s_clause 0x3
	s_load_dwordx4 s[36:39], s[4:5], 0x20
	s_load_dwordx16 s[8:23], s[4:5], 0x40
	s_load_dwordx2 s[40:41], s[4:5], 0xa0
	s_load_dwordx8 s[24:31], s[4:5], 0x80
	v_ashrrev_i32_e32 v4, 31, v3
	s_mul_i32 s2, s7, s34
	v_or_b32_e32 v19, 0x800, v1
	s_ashr_i32 s3, s2, 31
	s_mul_i32 s42, s33, s34
	v_lshlrev_b64 v[1:2], 2, v[3:4]
	s_ashr_i32 s35, s34, 31
	s_lshl_b64 s[2:3], s[2:3], 2
	s_ashr_i32 s43, s42, 31
	v_mov_b32_e32 v5, 0
	s_waitcnt lgkmcnt(0)
	s_ashr_i32 s45, s38, 31
	s_mov_b32 s44, s38
	s_mul_hi_u32 s1, s12, s34
	s_mul_i32 s38, s12, s35
	s_add_u32 s2, s18, s2
	s_addc_u32 s3, s19, s3
	s_add_i32 s18, s1, s38
	v_add_co_u32 v1, s1, s2, v1
	v_add_co_ci_u32_e64 v2, null, s3, v2, s1
	s_mul_i32 s13, s13, s34
	s_mul_hi_i32 s47, s39, s34
	s_mul_i32 s46, s39, s34
	s_add_i32 s13, s18, s13
	s_mul_i32 s12, s12, s34
	s_mov_b32 s3, exec_lo
	v_cmpx_lt_i32_e32 0, v21
	s_cbranch_execz .LBB6_16
; %bb.11:
	s_load_dwordx4 s[48:51], s[4:5], 0x30
	v_lshlrev_b64 v[4:5], 3, v[3:4]
	s_waitcnt lgkmcnt(0)
	s_ashr_i32 s19, s50, 31
	s_mul_hi_i32 s39, s34, s51
	s_mul_i32 s38, s34, s51
	s_mov_b32 s18, s50
	s_lshl_b64 s[38:39], s[38:39], 3
	s_lshl_b64 s[18:19], s[18:19], 3
	s_add_u32 s1, s38, s18
	s_addc_u32 s2, s39, s19
	s_add_u32 s1, s48, s1
	s_addc_u32 s2, s49, s2
	s_lshl_b64 s[18:19], s[46:47], 3
	s_lshl_b64 s[38:39], s[44:45], 3
	v_add_co_u32 v7, s1, s1, v4
	v_add_co_ci_u32_e64 v8, null, s2, v5, s1
	s_add_u32 s1, s18, s38
	s_addc_u32 s2, s19, s39
	s_add_u32 s1, s36, s1
	s_addc_u32 s2, s37, s2
	s_lshl_b64 s[18:19], s[42:43], 3
	v_add_co_u32 v9, s1, s1, v4
	v_add_co_ci_u32_e64 v10, null, s2, v5, s1
	s_add_u32 s1, s22, s18
	s_addc_u32 s2, s23, s19
	s_lshl_b64 s[18:19], s[12:13], 3
	v_add_co_u32 v11, s1, s1, v4
	v_add_co_ci_u32_e64 v12, null, s2, v5, s1
	s_add_u32 s1, s10, s18
	s_addc_u32 s2, s11, s19
	v_add_co_u32 v13, s1, s1, v4
	v_add_co_ci_u32_e64 v14, null, s2, v5, s1
	v_mov_b32_e32 v5, 0
	s_mov_b32 s18, 0
	s_branch .LBB6_13
.LBB6_12:                               ;   in Loop: Header=BB6_13 Depth=1
	s_or_b32 exec_lo, exec_lo, s2
	v_add_co_u32 v7, s1, v7, 8
	v_add_nc_u32_e32 v21, -1, v21
	v_add_co_ci_u32_e64 v8, null, 0, v8, s1
	v_add_co_u32 v9, s1, v9, 8
	global_store_dwordx2 v[11:12], v[17:18], off
	global_store_dwordx2 v[13:14], v[15:16], off
	v_add_co_ci_u32_e64 v10, null, 0, v10, s1
	v_add_co_u32 v11, s1, v11, 8
	v_add_co_ci_u32_e64 v12, null, 0, v12, s1
	v_cmp_eq_u32_e64 s1, 0, v21
	v_add_co_u32 v13, s2, v13, 8
	v_add_nc_u32_e32 v3, 1, v3
	v_add_co_ci_u32_e64 v14, null, 0, v14, s2
	s_or_b32 s18, s1, s18
	s_andn2_b32 exec_lo, exec_lo, s18
	s_cbranch_execz .LBB6_15
.LBB6_13:                               ; =>This Inner Loop Header: Depth=1
	global_load_dwordx4 v[22:25], v[9:10], off
	global_load_dwordx2 v[15:16], v[7:8], off
	s_mov_b32 s2, exec_lo
	s_waitcnt vmcnt(1)
	v_mul_f64 v[17:18], v[22:23], v[24:25]
	v_mul_f64 v[22:23], s[30:31], |v[17:18]|
	s_waitcnt vmcnt(0)
	v_mul_f64 v[17:18], v[15:16], v[15:16]
	v_fma_f64 v[22:23], s[30:31], v[22:23], s[40:41]
	v_cmpx_gt_f64_e32 v[22:23], v[17:18]
	s_cbranch_execz .LBB6_12
; %bb.14:                               ;   in Loop: Header=BB6_13 Depth=1
	v_ashrrev_i32_e32 v6, 31, v5
	v_mov_b32_e32 v17, 0
	v_mov_b32_e32 v18, 0
	v_lshlrev_b64 v[15:16], 2, v[5:6]
	v_add_nc_u32_e32 v5, 1, v5
	v_add_co_u32 v22, s1, v1, v15
	v_add_co_ci_u32_e64 v23, null, v2, v16, s1
	v_mov_b32_e32 v15, 0
	v_mov_b32_e32 v16, 0
	global_store_dword v[22:23], v3, off
	s_branch .LBB6_12
.LBB6_15:
	s_or_b32 exec_lo, exec_lo, s18
.LBB6_16:
	s_or_b32 exec_lo, exec_lo, s3
	v_mov_b32_e32 v3, 0
	ds_write_b32 v19, v5
	s_waitcnt lgkmcnt(0)
	s_waitcnt_vscnt null, 0x0
	s_barrier
	buffer_gl0_inv
	s_and_saveexec_b32 s1, vcc_lo
	s_cbranch_execz .LBB6_26
; %bb.17:
	v_mov_b32_e32 v3, 0
	v_mov_b32_e32 v4, 0
	s_mov_b32 s2, exec_lo
	v_cmpx_lt_u32_e32 6, v20
	s_cbranch_execz .LBB6_21
; %bb.18:
	v_and_b32_e32 v4, 0xf8, v0
	v_mov_b32_e32 v3, 0
	s_movk_i32 s18, 0x800
	s_mov_b32 s3, 0
	s_mov_b32 s19, 0
	.p2align	6
.LBB6_19:                               ; =>This Inner Loop Header: Depth=1
	v_mov_b32_e32 v10, s18
	s_add_i32 s19, s19, 8
	s_add_i32 s18, s18, 32
	v_cmp_eq_u32_e32 vcc_lo, s19, v4
	ds_read_b128 v[6:9], v10
	ds_read_b128 v[10:13], v10 offset:16
	s_or_b32 s3, vcc_lo, s3
	s_waitcnt lgkmcnt(1)
	v_add_nc_u32_e32 v3, v6, v3
	v_add_nc_u32_e32 v3, v7, v3
	;; [unrolled: 1-line block ×4, first 2 shown]
	s_waitcnt lgkmcnt(0)
	v_add_nc_u32_e32 v3, v10, v3
	v_add_nc_u32_e32 v3, v11, v3
	;; [unrolled: 1-line block ×4, first 2 shown]
	s_andn2_b32 exec_lo, exec_lo, s3
	s_cbranch_execnz .LBB6_19
; %bb.20:
	s_or_b32 exec_lo, exec_lo, s3
.LBB6_21:
	s_or_b32 exec_lo, exec_lo, s2
	v_and_b32_e32 v6, 7, v0
	s_mov_b32 s3, 0
	s_mov_b32 s2, exec_lo
	v_cmpx_ne_u32_e32 0, v6
	s_cbranch_execz .LBB6_25
; %bb.22:
	v_lshl_or_b32 v4, v4, 2, 0x800
.LBB6_23:                               ; =>This Inner Loop Header: Depth=1
	ds_read_b32 v7, v4
	v_add_nc_u32_e32 v6, -1, v6
	v_add_nc_u32_e32 v4, 4, v4
	v_cmp_eq_u32_e32 vcc_lo, 0, v6
	s_or_b32 s3, vcc_lo, s3
	s_waitcnt lgkmcnt(0)
	v_add_nc_u32_e32 v3, v7, v3
	s_andn2_b32 exec_lo, exec_lo, s3
	s_cbranch_execnz .LBB6_23
; %bb.24:
	s_or_b32 exec_lo, exec_lo, s3
.LBB6_25:
	s_or_b32 exec_lo, exec_lo, s2
.LBB6_26:
	s_or_b32 exec_lo, exec_lo, s1
	s_mul_i32 s1, s16, s35
	s_mul_hi_u32 s2, s16, s34
	s_add_i32 s1, s2, s1
	s_mul_i32 s2, s17, s34
	s_mov_b32 s17, 0
	s_add_i32 s3, s1, s2
	s_mul_i32 s2, s16, s34
	s_mov_b32 s16, exec_lo
	v_cmpx_lt_i32_e32 0, v5
	s_cbranch_execz .LBB6_29
; %bb.27:
	v_ashrrev_i32_e32 v4, 31, v3
	s_lshl_b64 s[18:19], s[2:3], 2
	s_add_u32 s1, s14, s18
	s_addc_u32 s18, s15, s19
	v_lshlrev_b64 v[6:7], 2, v[3:4]
	v_mov_b32_e32 v4, v5
	v_add_co_u32 v6, vcc_lo, s1, v6
	v_add_co_ci_u32_e64 v7, null, s18, v7, vcc_lo
	.p2align	6
.LBB6_28:                               ; =>This Inner Loop Header: Depth=1
	global_load_dword v8, v[1:2], off
	v_add_nc_u32_e32 v4, -1, v4
	v_add_co_u32 v1, vcc_lo, v1, 4
	v_add_co_ci_u32_e64 v2, null, 0, v2, vcc_lo
	v_cmp_eq_u32_e32 vcc_lo, 0, v4
	s_or_b32 s17, vcc_lo, s17
	s_waitcnt vmcnt(0)
	v_add_nc_u32_e32 v8, 1, v8
	global_store_dword v[6:7], v8, off
	v_add_co_u32 v6, s1, v6, 4
	v_add_co_ci_u32_e64 v7, null, 0, v7, s1
	s_andn2_b32 exec_lo, exec_lo, s17
	s_cbranch_execnz .LBB6_28
.LBB6_29:
	s_or_b32 exec_lo, exec_lo, s16
	v_cmp_eq_u32_e64 s1, 0xff, v0
	s_and_saveexec_b32 s16, s1
	s_cbranch_execz .LBB6_31
; %bb.30:
	v_add_nc_u32_e32 v1, v3, v5
	s_lshl_b64 s[18:19], s[34:35], 2
	v_mov_b32_e32 v5, s7
	s_add_u32 s8, s8, s18
	s_addc_u32 s9, s9, s19
	v_ashrrev_i32_e32 v2, 31, v1
	s_lshl_b64 s[2:3], s[2:3], 2
	v_mov_b32_e32 v4, 0
	s_add_u32 s2, s14, s2
	s_addc_u32 s3, s15, s3
	v_lshlrev_b64 v[2:3], 2, v[1:2]
	v_add_nc_u32_e32 v1, 1, v1
	v_add_co_u32 v2, vcc_lo, s2, v2
	v_add_co_ci_u32_e64 v3, null, s3, v3, vcc_lo
	global_store_dword v[2:3], v5, off
	global_store_dword v4, v1, s[8:9]
.LBB6_31:
	s_or_b32 exec_lo, exec_lo, s16
	v_mov_b32_e32 v1, 0
	v_mov_b32_e32 v2, 0
	v_bfrev_b32_e32 v6, -2
	v_lshlrev_b32_e32 v5, 3, v0
	s_mov_b32 s3, exec_lo
	s_waitcnt_vscnt null, 0x0
	s_barrier
	buffer_gl0_inv
	v_cmpx_gt_i32_e64 s33, v0
	s_cbranch_execz .LBB6_35
; %bb.32:
	s_lshl_b64 s[8:9], s[42:43], 3
	v_mov_b32_e32 v1, 0
	s_add_u32 s2, s22, s8
	s_addc_u32 s8, s23, s9
	v_add_co_u32 v3, s2, s2, v5
	v_add_co_ci_u32_e64 v4, null, s8, 0, s2
	v_mov_b32_e32 v2, 0
	v_bfrev_b32_e32 v6, -2
	v_mov_b32_e32 v7, v0
	s_mov_b32 s8, 0
	.p2align	6
.LBB6_33:                               ; =>This Inner Loop Header: Depth=1
	global_load_dwordx2 v[8:9], v[3:4], off
	v_cmp_eq_u32_e32 vcc_lo, 0x7fffffff, v6
	v_add_nc_u32_e32 v10, 1, v7
	v_add_nc_u32_e32 v7, 0x100, v7
	v_add_co_u32 v3, s2, 0x800, v3
	v_add_co_ci_u32_e64 v4, null, 0, v4, s2
	v_cmp_le_i32_e64 s2, s33, v7
	s_waitcnt vmcnt(0)
	v_cmp_lt_f64_e64 s9, v[1:2], |v[8:9]|
	v_and_b32_e32 v9, 0x7fffffff, v9
	s_or_b32 vcc_lo, s9, vcc_lo
	s_or_b32 s8, s2, s8
	v_cndmask_b32_e32 v2, v2, v9, vcc_lo
	v_cndmask_b32_e32 v1, v1, v8, vcc_lo
	;; [unrolled: 1-line block ×3, first 2 shown]
	s_andn2_b32 exec_lo, exec_lo, s8
	s_cbranch_execnz .LBB6_33
; %bb.34:
	s_or_b32 exec_lo, exec_lo, s8
.LBB6_35:
	s_or_b32 exec_lo, exec_lo, s3
	s_cmp_lt_i32 s7, 3
	ds_write_b64 v5, v[1:2]
	ds_write_b32 v19, v6
	s_waitcnt lgkmcnt(0)
	s_barrier
	buffer_gl0_inv
	s_cbranch_scc1 .LBB6_72
; %bb.36:
	s_mov_b32 s3, exec_lo
	v_cmpx_gt_u32_e32 0x80, v0
	s_cbranch_execz .LBB6_42
; %bb.37:
	ds_read_b64 v[3:4], v5 offset:1024
	ds_read_b32 v7, v19 offset:512
	s_mov_b32 s9, exec_lo
	s_waitcnt lgkmcnt(1)
	v_cmp_lt_f64_e64 s8, v[1:2], v[3:4]
	v_cmpx_nlt_f64_e32 v[1:2], v[3:4]
	s_cbranch_execz .LBB6_39
; %bb.38:
	v_cmp_eq_f64_e32 vcc_lo, v[1:2], v[3:4]
	s_waitcnt lgkmcnt(0)
	v_cmp_gt_i32_e64 s2, v6, v7
	s_andn2_b32 s8, s8, exec_lo
	s_and_b32 s2, vcc_lo, s2
	s_and_b32 s2, s2, exec_lo
	s_or_b32 s8, s8, s2
.LBB6_39:
	s_or_b32 exec_lo, exec_lo, s9
	s_and_saveexec_b32 s2, s8
	s_cbranch_execz .LBB6_41
; %bb.40:
	v_mov_b32_e32 v1, v3
	s_waitcnt lgkmcnt(0)
	v_mov_b32_e32 v6, v7
	v_mov_b32_e32 v2, v4
	ds_write_b64 v5, v[3:4]
	ds_write_b32 v19, v7
.LBB6_41:
	s_or_b32 exec_lo, exec_lo, s2
.LBB6_42:
	s_or_b32 exec_lo, exec_lo, s3
	s_mov_b32 s3, exec_lo
	s_waitcnt lgkmcnt(0)
	s_barrier
	buffer_gl0_inv
	v_cmpx_gt_u32_e32 64, v0
	s_cbranch_execz .LBB6_48
; %bb.43:
	ds_read_b64 v[3:4], v5 offset:512
	ds_read_b32 v7, v19 offset:256
	s_mov_b32 s9, exec_lo
	s_waitcnt lgkmcnt(1)
	v_cmp_lt_f64_e64 s8, v[1:2], v[3:4]
	v_cmpx_nlt_f64_e32 v[1:2], v[3:4]
	s_cbranch_execz .LBB6_45
; %bb.44:
	v_cmp_eq_f64_e32 vcc_lo, v[1:2], v[3:4]
	s_waitcnt lgkmcnt(0)
	v_cmp_gt_i32_e64 s2, v6, v7
	s_andn2_b32 s8, s8, exec_lo
	s_and_b32 s2, vcc_lo, s2
	s_and_b32 s2, s2, exec_lo
	s_or_b32 s8, s8, s2
.LBB6_45:
	s_or_b32 exec_lo, exec_lo, s9
	s_and_saveexec_b32 s2, s8
	s_cbranch_execz .LBB6_47
; %bb.46:
	v_mov_b32_e32 v1, v3
	s_waitcnt lgkmcnt(0)
	v_mov_b32_e32 v6, v7
	v_mov_b32_e32 v2, v4
	ds_write_b64 v5, v[3:4]
	ds_write_b32 v19, v7
.LBB6_47:
	s_or_b32 exec_lo, exec_lo, s2
.LBB6_48:
	s_or_b32 exec_lo, exec_lo, s3
	s_mov_b32 s8, exec_lo
	s_waitcnt lgkmcnt(0)
	s_barrier
	buffer_gl0_inv
	v_cmpx_gt_u32_e32 32, v0
	s_cbranch_execz .LBB6_71
; %bb.49:
	ds_read_b64 v[3:4], v5 offset:256
	ds_read_b32 v7, v19 offset:128
	s_mov_b32 s9, exec_lo
	s_waitcnt lgkmcnt(1)
	v_cmp_lt_f64_e64 s3, v[1:2], v[3:4]
	v_cmpx_nlt_f64_e32 v[1:2], v[3:4]
	s_cbranch_execz .LBB6_51
; %bb.50:
	v_cmp_eq_f64_e32 vcc_lo, v[1:2], v[3:4]
	s_waitcnt lgkmcnt(0)
	v_cmp_gt_i32_e64 s2, v6, v7
	s_andn2_b32 s3, s3, exec_lo
	s_and_b32 s2, vcc_lo, s2
	s_and_b32 s2, s2, exec_lo
	s_or_b32 s3, s3, s2
.LBB6_51:
	s_or_b32 exec_lo, exec_lo, s9
	s_and_saveexec_b32 s2, s3
	s_cbranch_execz .LBB6_53
; %bb.52:
	v_mov_b32_e32 v1, v3
	v_mov_b32_e32 v2, v4
	s_waitcnt lgkmcnt(0)
	v_mov_b32_e32 v6, v7
	ds_write_b64 v5, v[3:4]
	ds_write_b32 v19, v7
.LBB6_53:
	s_or_b32 exec_lo, exec_lo, s2
	ds_read_b64 v[3:4], v5 offset:128
	s_waitcnt lgkmcnt(1)
	ds_read_b32 v7, v19 offset:64
	s_mov_b32 s9, exec_lo
	s_waitcnt lgkmcnt(1)
	v_cmp_lt_f64_e64 s3, v[1:2], v[3:4]
	v_cmpx_nlt_f64_e32 v[1:2], v[3:4]
	s_cbranch_execz .LBB6_55
; %bb.54:
	v_cmp_eq_f64_e32 vcc_lo, v[1:2], v[3:4]
	s_waitcnt lgkmcnt(0)
	v_cmp_gt_i32_e64 s2, v6, v7
	s_andn2_b32 s3, s3, exec_lo
	s_and_b32 s2, vcc_lo, s2
	s_and_b32 s2, s2, exec_lo
	s_or_b32 s3, s3, s2
.LBB6_55:
	s_or_b32 exec_lo, exec_lo, s9
	s_and_saveexec_b32 s2, s3
	s_cbranch_execz .LBB6_57
; %bb.56:
	v_mov_b32_e32 v1, v3
	v_mov_b32_e32 v2, v4
	s_waitcnt lgkmcnt(0)
	v_mov_b32_e32 v6, v7
	ds_write_b64 v5, v[3:4]
	ds_write_b32 v19, v7
.LBB6_57:
	s_or_b32 exec_lo, exec_lo, s2
	ds_read_b64 v[3:4], v5 offset:64
	s_waitcnt lgkmcnt(1)
	;; [unrolled: 29-line block ×5, first 2 shown]
	ds_read_b32 v7, v19 offset:4
	s_waitcnt lgkmcnt(1)
	v_cmp_eq_f64_e32 vcc_lo, v[1:2], v[3:4]
	v_cmp_lt_f64_e64 s2, v[1:2], v[3:4]
	s_waitcnt lgkmcnt(0)
	v_cmp_gt_i32_e64 s3, v6, v7
	s_and_b32 s3, vcc_lo, s3
	s_or_b32 s2, s2, s3
	s_and_b32 exec_lo, exec_lo, s2
	s_cbranch_execz .LBB6_71
; %bb.70:
	ds_write_b64 v5, v[3:4]
	ds_write_b32 v19, v7
.LBB6_71:
	s_or_b32 exec_lo, exec_lo, s8
.LBB6_72:
	v_mov_b32_e32 v1, 0
	s_waitcnt lgkmcnt(0)
	s_barrier
	buffer_gl0_inv
	s_load_dwordx4 s[16:19], s[4:5], 0x8
	ds_read_b64 v[1:2], v1
	s_mov_b32 s38, -1
	s_waitcnt lgkmcnt(0)
	v_mov_b32_e32 v3, s18
	v_mul_f64 v[1:2], s[40:41], v[1:2]
	v_mov_b32_e32 v4, s19
	v_cmp_gt_f64_e32 vcc_lo, s[40:41], v[1:2]
	v_readfirstlane_b32 s2, v2
	v_readfirstlane_b32 s3, v1
	v_mov_b32_e32 v1, s16
	v_mov_b32_e32 v2, s17
	s_and_b32 s8, vcc_lo, exec_lo
	s_cselect_b32 s9, s41, s2
	s_cselect_b32 s8, s40, s3
	s_cmpk_lg_i32 s6, 0xe9
	s_cbranch_scc1 .LBB6_121
; %bb.73:
	s_lshl_b64 s[38:39], s[46:47], 3
	s_add_u32 s2, s36, s38
	s_addc_u32 s3, s37, s39
	s_lshl_b64 s[40:41], s[44:45], 3
	s_add_u32 s44, s2, s40
	s_addc_u32 s45, s3, s41
	s_lshl_b64 s[2:3], s[42:43], 3
	s_add_u32 s22, s22, s2
	s_addc_u32 s23, s23, s3
	s_lshl_b64 s[2:3], s[12:13], 3
	s_add_u32 s42, s10, s2
	s_addc_u32 s43, s11, s3
	s_lshl_b32 s12, s7, 1
	s_mul_i32 s2, s12, s34
	s_ashr_i32 s3, s2, 31
	s_lshl_b64 s[18:19], s[2:3], 3
	s_add_u32 s10, s26, s18
	s_addc_u32 s11, s27, s19
	s_lshl_b64 s[14:15], s[2:3], 2
	s_add_u32 s16, s28, s14
	s_addc_u32 s17, s29, s15
	s_and_saveexec_b32 s13, s0
	s_cbranch_execz .LBB6_81
; %bb.74:
	v_mov_b32_e32 v10, 0
	s_cmp_gt_i32 s7, 1
	s_clause 0x1
	global_load_dwordx2 v[6:7], v10, s[44:45]
	global_load_dwordx2 v[3:4], v10, s[42:43]
	s_cselect_b32 s48, -1, 0
	s_cmp_lt_i32 s7, 2
	s_waitcnt vmcnt(0)
	v_add_f64 v[1:2], v[6:7], -|v[3:4]|
	v_and_b32_e32 v4, 0x7fffffff, v4
	v_add_f64 v[8:9], v[6:7], -v[1:2]
	v_cmp_ge_f64_e32 vcc_lo, s[8:9], v[8:9]
	v_cndmask_b32_e64 v5, 0, 1, vcc_lo
	s_cbranch_scc1 .LBB6_77
; %bb.75:
	v_cmp_gt_f64_e64 s46, v[8:9], -s[8:9]
	s_xor_b32 s49, s9, 0x80000000
	s_mov_b64 s[2:3], s[22:23]
	s_and_b32 s46, vcc_lo, s46
	s_add_u32 s47, s38, s40
	v_cndmask_b32_e64 v9, v9, s49, s46
	v_cndmask_b32_e64 v8, v8, s8, s46
	s_addc_u32 s46, s39, s41
	s_add_u32 s47, s36, s47
	s_addc_u32 s50, s37, s46
	s_add_u32 s46, s47, 8
	s_addc_u32 s47, s50, 0
	s_mov_b32 s50, s33
	s_inst_prefetch 0x1
	.p2align	6
.LBB6_76:                               ; =>This Inner Loop Header: Depth=1
	s_clause 0x1
	global_load_dwordx2 v[11:12], v10, s[2:3]
	global_load_dwordx2 v[13:14], v10, s[46:47]
	s_add_i32 s50, s50, -1
	s_waitcnt vmcnt(1)
	v_div_scale_f64 v[15:16], null, v[8:9], v[8:9], v[11:12]
	v_div_scale_f64 v[21:22], vcc_lo, v[11:12], v[8:9], v[11:12]
	s_waitcnt vmcnt(0)
	v_add_f64 v[13:14], v[13:14], -v[1:2]
	v_rcp_f64_e32 v[17:18], v[15:16]
	v_fma_f64 v[19:20], -v[15:16], v[17:18], 1.0
	v_fma_f64 v[17:18], v[17:18], v[19:20], v[17:18]
	v_fma_f64 v[19:20], -v[15:16], v[17:18], 1.0
	v_fma_f64 v[17:18], v[17:18], v[19:20], v[17:18]
	v_mul_f64 v[19:20], v[21:22], v[17:18]
	v_fma_f64 v[15:16], -v[15:16], v[19:20], v[21:22]
	v_div_fmas_f64 v[15:16], v[15:16], v[17:18], v[19:20]
	v_div_fixup_f64 v[8:9], v[15:16], v[8:9], v[11:12]
	v_add_f64 v[8:9], v[13:14], -v[8:9]
	v_cmp_ge_f64_e32 vcc_lo, s[8:9], v[8:9]
	v_cmp_gt_f64_e64 s51, v[8:9], -s[8:9]
	v_add_co_ci_u32_e64 v5, null, 0, v5, vcc_lo
	s_and_b32 s51, vcc_lo, s51
	s_add_u32 s46, s46, 8
	v_cndmask_b32_e64 v9, v9, s49, s51
	v_cndmask_b32_e64 v8, v8, s8, s51
	s_addc_u32 s47, s47, 0
	s_add_u32 s2, s2, 8
	s_addc_u32 s3, s3, 0
	s_cmp_lg_u32 s50, 0
	s_cbranch_scc1 .LBB6_76
.LBB6_77:
	s_inst_prefetch 0x2
	v_add_f64 v[3:4], v[6:7], v[3:4]
	s_andn2_b32 vcc_lo, exec_lo, s48
	v_add_f64 v[7:8], v[6:7], -v[3:4]
	v_cmp_ge_f64_e64 s2, s[8:9], v[7:8]
	v_cndmask_b32_e64 v6, 0, 1, s2
	s_cbranch_vccnz .LBB6_80
; %bb.78:
	v_cmp_gt_f64_e64 s3, v[7:8], -s[8:9]
	s_xor_b32 s48, s9, 0x80000000
	v_mov_b32_e32 v9, 0
	s_mov_b64 s[46:47], s[22:23]
	s_and_b32 s2, s2, s3
	s_add_u32 s3, s38, s40
	v_cndmask_b32_e64 v8, v8, s48, s2
	v_cndmask_b32_e64 v7, v7, s8, s2
	s_addc_u32 s2, s39, s41
	s_add_u32 s3, s36, s3
	s_addc_u32 s49, s37, s2
	s_add_u32 s2, s3, 8
	s_addc_u32 s3, s49, 0
	s_mov_b32 s49, s33
	s_inst_prefetch 0x1
	.p2align	6
.LBB6_79:                               ; =>This Inner Loop Header: Depth=1
	s_clause 0x1
	global_load_dwordx2 v[10:11], v9, s[46:47]
	global_load_dwordx2 v[12:13], v9, s[2:3]
	s_add_i32 s49, s49, -1
	s_waitcnt vmcnt(1)
	v_div_scale_f64 v[14:15], null, v[7:8], v[7:8], v[10:11]
	v_div_scale_f64 v[20:21], vcc_lo, v[10:11], v[7:8], v[10:11]
	s_waitcnt vmcnt(0)
	v_add_f64 v[12:13], v[12:13], -v[3:4]
	v_rcp_f64_e32 v[16:17], v[14:15]
	v_fma_f64 v[18:19], -v[14:15], v[16:17], 1.0
	v_fma_f64 v[16:17], v[16:17], v[18:19], v[16:17]
	v_fma_f64 v[18:19], -v[14:15], v[16:17], 1.0
	v_fma_f64 v[16:17], v[16:17], v[18:19], v[16:17]
	v_mul_f64 v[18:19], v[20:21], v[16:17]
	v_fma_f64 v[14:15], -v[14:15], v[18:19], v[20:21]
	v_div_fmas_f64 v[14:15], v[14:15], v[16:17], v[18:19]
	v_div_fixup_f64 v[7:8], v[14:15], v[7:8], v[10:11]
	v_add_f64 v[7:8], v[12:13], -v[7:8]
	v_cmp_ge_f64_e32 vcc_lo, s[8:9], v[7:8]
	v_cmp_gt_f64_e64 s50, v[7:8], -s[8:9]
	v_add_co_ci_u32_e64 v6, null, 0, v6, vcc_lo
	s_and_b32 s50, vcc_lo, s50
	s_add_u32 s2, s2, 8
	v_cndmask_b32_e64 v8, v8, s48, s50
	v_cndmask_b32_e64 v7, v7, s8, s50
	s_addc_u32 s3, s3, 0
	s_add_u32 s46, s46, 8
	s_addc_u32 s47, s47, 0
	s_cmp_lg_u32 s49, 0
	s_cbranch_scc1 .LBB6_79
.LBB6_80:
	s_inst_prefetch 0x2
	v_mov_b32_e32 v7, 0
	global_store_dwordx4 v7, v[1:4], s[10:11]
	global_store_dwordx2 v7, v[5:6], s[16:17]
.LBB6_81:
	s_or_b32 exec_lo, exec_lo, s13
	v_add_nc_u32_e32 v4, 1, v0
	s_mov_b32 s13, exec_lo
	v_cmpx_gt_i32_e64 s33, v4
	s_cbranch_execz .LBB6_88
; %bb.82:
	s_add_u32 s2, s38, s40
	s_addc_u32 s3, s39, s41
	s_add_u32 s2, s36, s2
	v_mov_b32_e32 v5, 0
	s_addc_u32 s3, s37, s3
	s_add_u32 s46, s2, 8
	s_addc_u32 s47, s3, 0
	s_mov_b32 s50, 0
	s_xor_b32 s51, s9, 0x80000000
.LBB6_83:                               ; =>This Loop Header: Depth=1
                                        ;     Child Loop BB6_84 Depth 2
                                        ;     Child Loop BB6_86 Depth 2
	v_lshlrev_b64 v[0:1], 3, v[4:5]
	s_mov_b32 s52, 1
	s_mov_b64 s[48:49], s[46:47]
	v_add_co_u32 v2, vcc_lo, s42, v0
	v_add_co_ci_u32_e64 v3, null, s43, v1, vcc_lo
	v_add_co_u32 v0, vcc_lo, s44, v0
	v_add_co_ci_u32_e64 v1, null, s45, v1, vcc_lo
	global_load_dwordx4 v[9:12], v[2:3], off offset:-8
	s_clause 0x1
	global_load_dwordx2 v[2:3], v[0:1], off
	global_load_dwordx2 v[7:8], v5, s[44:45]
	s_waitcnt vmcnt(2)
	v_add_f64 v[9:10], |v[11:12]|, |v[9:10]|
	s_waitcnt vmcnt(1)
	v_add_f64 v[0:1], v[2:3], -v[9:10]
	s_waitcnt vmcnt(0)
	v_add_f64 v[11:12], v[7:8], -v[0:1]
	v_cmp_gt_f64_e64 s2, v[11:12], -s[8:9]
	v_cmp_ge_f64_e32 vcc_lo, s[8:9], v[11:12]
	s_and_b32 s2, vcc_lo, s2
	v_cndmask_b32_e64 v6, 0, 1, vcc_lo
	v_cndmask_b32_e64 v12, v12, s51, s2
	v_cndmask_b32_e64 v11, v11, s8, s2
	s_mov_b64 s[2:3], s[22:23]
	s_inst_prefetch 0x1
	.p2align	6
.LBB6_84:                               ;   Parent Loop BB6_83 Depth=1
                                        ; =>  This Inner Loop Header: Depth=2
	s_clause 0x1
	global_load_dwordx2 v[13:14], v5, s[2:3]
	global_load_dwordx2 v[15:16], v5, s[48:49]
	s_add_i32 s52, s52, 1
	s_waitcnt vmcnt(1)
	v_div_scale_f64 v[17:18], null, v[11:12], v[11:12], v[13:14]
	v_div_scale_f64 v[23:24], vcc_lo, v[13:14], v[11:12], v[13:14]
	s_waitcnt vmcnt(0)
	v_add_f64 v[15:16], v[15:16], -v[0:1]
	v_rcp_f64_e32 v[19:20], v[17:18]
	v_fma_f64 v[21:22], -v[17:18], v[19:20], 1.0
	v_fma_f64 v[19:20], v[19:20], v[21:22], v[19:20]
	v_fma_f64 v[21:22], -v[17:18], v[19:20], 1.0
	v_fma_f64 v[19:20], v[19:20], v[21:22], v[19:20]
	v_mul_f64 v[21:22], v[23:24], v[19:20]
	v_fma_f64 v[17:18], -v[17:18], v[21:22], v[23:24]
	v_div_fmas_f64 v[17:18], v[17:18], v[19:20], v[21:22]
	v_div_fixup_f64 v[11:12], v[17:18], v[11:12], v[13:14]
	v_add_f64 v[11:12], v[15:16], -v[11:12]
	v_cmp_ge_f64_e32 vcc_lo, s[8:9], v[11:12]
	v_cmp_gt_f64_e64 s53, v[11:12], -s[8:9]
	v_add_co_ci_u32_e64 v6, null, 0, v6, vcc_lo
	s_and_b32 s53, vcc_lo, s53
	s_add_u32 s48, s48, 8
	v_cndmask_b32_e64 v12, v12, s51, s53
	v_cndmask_b32_e64 v11, v11, s8, s53
	s_addc_u32 s49, s49, 0
	s_add_u32 s2, s2, 8
	s_addc_u32 s3, s3, 0
	s_cmp_lg_u32 s7, s52
	s_cbranch_scc1 .LBB6_84
; %bb.85:                               ;   in Loop: Header=BB6_83 Depth=1
	s_inst_prefetch 0x2
	v_add_f64 v[2:3], v[2:3], v[9:10]
	s_mov_b64 s[48:49], s[46:47]
	s_mov_b32 s52, s33
	v_add_f64 v[8:9], v[7:8], -v[2:3]
	v_cmp_gt_f64_e64 s2, v[8:9], -s[8:9]
	v_cmp_ge_f64_e32 vcc_lo, s[8:9], v[8:9]
	s_and_b32 s2, vcc_lo, s2
	v_cndmask_b32_e64 v7, 0, 1, vcc_lo
	v_cndmask_b32_e64 v9, v9, s51, s2
	v_cndmask_b32_e64 v8, v8, s8, s2
	s_mov_b64 s[2:3], s[22:23]
	s_inst_prefetch 0x1
	.p2align	6
.LBB6_86:                               ;   Parent Loop BB6_83 Depth=1
                                        ; =>  This Inner Loop Header: Depth=2
	s_clause 0x1
	global_load_dwordx2 v[10:11], v5, s[2:3]
	global_load_dwordx2 v[12:13], v5, s[48:49]
	s_add_i32 s52, s52, -1
	s_waitcnt vmcnt(1)
	v_div_scale_f64 v[14:15], null, v[8:9], v[8:9], v[10:11]
	v_div_scale_f64 v[20:21], vcc_lo, v[10:11], v[8:9], v[10:11]
	s_waitcnt vmcnt(0)
	v_add_f64 v[12:13], v[12:13], -v[2:3]
	v_rcp_f64_e32 v[16:17], v[14:15]
	v_fma_f64 v[18:19], -v[14:15], v[16:17], 1.0
	v_fma_f64 v[16:17], v[16:17], v[18:19], v[16:17]
	v_fma_f64 v[18:19], -v[14:15], v[16:17], 1.0
	v_fma_f64 v[16:17], v[16:17], v[18:19], v[16:17]
	v_mul_f64 v[18:19], v[20:21], v[16:17]
	v_fma_f64 v[14:15], -v[14:15], v[18:19], v[20:21]
	v_div_fmas_f64 v[14:15], v[14:15], v[16:17], v[18:19]
	v_div_fixup_f64 v[8:9], v[14:15], v[8:9], v[10:11]
	v_add_f64 v[8:9], v[12:13], -v[8:9]
	v_cmp_ge_f64_e32 vcc_lo, s[8:9], v[8:9]
	v_cmp_gt_f64_e64 s53, v[8:9], -s[8:9]
	v_add_co_ci_u32_e64 v7, null, 0, v7, vcc_lo
	s_and_b32 s53, vcc_lo, s53
	s_add_u32 s48, s48, 8
	v_cndmask_b32_e64 v9, v9, s51, s53
	v_cndmask_b32_e64 v8, v8, s8, s53
	s_addc_u32 s49, s49, 0
	s_add_u32 s2, s2, 8
	s_addc_u32 s3, s3, 0
	s_cmp_lg_u32 s52, 0
	s_cbranch_scc1 .LBB6_86
; %bb.87:                               ;   in Loop: Header=BB6_83 Depth=1
	s_inst_prefetch 0x2
	v_lshlrev_b32_e32 v8, 1, v4
	v_mov_b32_e32 v9, v5
	v_add_nc_u32_e32 v4, 0x100, v4
	v_lshlrev_b64 v[10:11], 3, v[8:9]
	v_lshlrev_b64 v[8:9], 2, v[8:9]
	v_cmp_le_i32_e32 vcc_lo, s33, v4
	v_add_co_u32 v10, s2, s10, v10
	v_add_co_ci_u32_e64 v11, null, s11, v11, s2
	v_add_co_u32 v8, s2, s16, v8
	v_add_co_ci_u32_e64 v9, null, s17, v9, s2
	s_or_b32 s50, vcc_lo, s50
	global_store_dwordx4 v[10:11], v[0:3], off
	global_store_dwordx2 v[8:9], v[6:7], off
	s_andn2_b32 exec_lo, exec_lo, s50
	s_cbranch_execnz .LBB6_83
.LBB6_88:
	s_or_b32 exec_lo, exec_lo, s13
	s_and_saveexec_b32 s46, s1
	s_cbranch_execz .LBB6_96
; %bb.89:
	s_ashr_i32 s3, s7, 31
	s_mov_b32 s2, s7
	v_mov_b32_e32 v11, 0
	s_lshl_b64 s[2:3], s[2:3], 3
	s_add_u32 s48, s44, s2
	s_addc_u32 s49, s45, s3
	s_add_u32 s2, s42, s2
	s_addc_u32 s3, s43, s3
	s_clause 0x2
	global_load_dwordx2 v[2:3], v11, s[48:49] offset:-8
	global_load_dwordx2 v[5:6], v11, s[2:3] offset:-16
	global_load_dwordx2 v[7:8], v11, s[44:45]
	s_cmp_gt_i32 s7, 1
	s_cselect_b32 s13, -1, 0
	s_cmp_lt_i32 s7, 2
	s_waitcnt vmcnt(1)
	v_add_f64 v[0:1], v[2:3], -|v[5:6]|
	v_and_b32_e32 v6, 0x7fffffff, v6
	s_waitcnt vmcnt(0)
	v_add_f64 v[9:10], v[7:8], -v[0:1]
	v_cmp_ge_f64_e32 vcc_lo, s[8:9], v[9:10]
	v_cndmask_b32_e64 v4, 0, 1, vcc_lo
	s_cbranch_scc1 .LBB6_92
; %bb.90:
	v_cmp_gt_f64_e64 s42, v[9:10], -s[8:9]
	s_xor_b32 s1, s9, 0x80000000
	s_mov_b64 s[2:3], s[22:23]
	s_and_b32 s42, vcc_lo, s42
	s_add_u32 s43, s38, s40
	v_cndmask_b32_e64 v10, v10, s1, s42
	v_cndmask_b32_e64 v9, v9, s8, s42
	s_addc_u32 s42, s39, s41
	s_add_u32 s43, s36, s43
	s_addc_u32 s44, s37, s42
	s_add_u32 s42, s43, 8
	s_addc_u32 s43, s44, 0
	s_mov_b32 s44, s33
	s_inst_prefetch 0x1
	.p2align	6
.LBB6_91:                               ; =>This Inner Loop Header: Depth=1
	s_clause 0x1
	global_load_dwordx2 v[12:13], v11, s[2:3]
	global_load_dwordx2 v[14:15], v11, s[42:43]
	s_add_i32 s44, s44, -1
	s_waitcnt vmcnt(1)
	v_div_scale_f64 v[16:17], null, v[9:10], v[9:10], v[12:13]
	v_div_scale_f64 v[22:23], vcc_lo, v[12:13], v[9:10], v[12:13]
	s_waitcnt vmcnt(0)
	v_add_f64 v[14:15], v[14:15], -v[0:1]
	v_rcp_f64_e32 v[18:19], v[16:17]
	v_fma_f64 v[20:21], -v[16:17], v[18:19], 1.0
	v_fma_f64 v[18:19], v[18:19], v[20:21], v[18:19]
	v_fma_f64 v[20:21], -v[16:17], v[18:19], 1.0
	v_fma_f64 v[18:19], v[18:19], v[20:21], v[18:19]
	v_mul_f64 v[20:21], v[22:23], v[18:19]
	v_fma_f64 v[16:17], -v[16:17], v[20:21], v[22:23]
	v_div_fmas_f64 v[16:17], v[16:17], v[18:19], v[20:21]
	v_div_fixup_f64 v[9:10], v[16:17], v[9:10], v[12:13]
	v_add_f64 v[9:10], v[14:15], -v[9:10]
	v_cmp_ge_f64_e32 vcc_lo, s[8:9], v[9:10]
	v_cmp_gt_f64_e64 s45, v[9:10], -s[8:9]
	v_add_co_ci_u32_e64 v4, null, 0, v4, vcc_lo
	s_and_b32 s45, vcc_lo, s45
	s_add_u32 s42, s42, 8
	v_cndmask_b32_e64 v10, v10, s1, s45
	v_cndmask_b32_e64 v9, v9, s8, s45
	s_addc_u32 s43, s43, 0
	s_add_u32 s2, s2, 8
	s_addc_u32 s3, s3, 0
	s_cmp_lg_u32 s44, 0
	s_cbranch_scc1 .LBB6_91
.LBB6_92:
	s_inst_prefetch 0x2
	v_add_f64 v[2:3], v[2:3], v[5:6]
	s_andn2_b32 vcc_lo, exec_lo, s13
	v_add_f64 v[6:7], v[7:8], -v[2:3]
	v_cmp_ge_f64_e64 s1, s[8:9], v[6:7]
	v_cndmask_b32_e64 v5, 0, 1, s1
	s_cbranch_vccnz .LBB6_95
; %bb.93:
	v_cmp_gt_f64_e64 s2, v[6:7], -s[8:9]
	s_xor_b32 s13, s9, 0x80000000
	v_mov_b32_e32 v8, 0
	s_and_b32 s1, s1, s2
	s_add_u32 s2, s38, s40
	v_cndmask_b32_e64 v7, v7, s13, s1
	v_cndmask_b32_e64 v6, v6, s8, s1
	s_addc_u32 s1, s39, s41
	s_add_u32 s2, s36, s2
	s_addc_u32 s1, s37, s1
	s_add_u32 s2, s2, 8
	s_addc_u32 s3, s1, 0
	s_inst_prefetch 0x1
	.p2align	6
.LBB6_94:                               ; =>This Inner Loop Header: Depth=1
	s_clause 0x1
	global_load_dwordx2 v[9:10], v8, s[22:23]
	global_load_dwordx2 v[11:12], v8, s[2:3]
	s_add_i32 s33, s33, -1
	s_waitcnt vmcnt(1)
	v_div_scale_f64 v[13:14], null, v[6:7], v[6:7], v[9:10]
	v_div_scale_f64 v[19:20], vcc_lo, v[9:10], v[6:7], v[9:10]
	s_waitcnt vmcnt(0)
	v_add_f64 v[11:12], v[11:12], -v[2:3]
	v_rcp_f64_e32 v[15:16], v[13:14]
	v_fma_f64 v[17:18], -v[13:14], v[15:16], 1.0
	v_fma_f64 v[15:16], v[15:16], v[17:18], v[15:16]
	v_fma_f64 v[17:18], -v[13:14], v[15:16], 1.0
	v_fma_f64 v[15:16], v[15:16], v[17:18], v[15:16]
	v_mul_f64 v[17:18], v[19:20], v[15:16]
	v_fma_f64 v[13:14], -v[13:14], v[17:18], v[19:20]
	v_div_fmas_f64 v[13:14], v[13:14], v[15:16], v[17:18]
	v_div_fixup_f64 v[6:7], v[13:14], v[6:7], v[9:10]
	v_add_f64 v[6:7], v[11:12], -v[6:7]
	v_cmp_ge_f64_e32 vcc_lo, s[8:9], v[6:7]
	v_cmp_gt_f64_e64 s1, v[6:7], -s[8:9]
	v_add_co_ci_u32_e64 v5, null, 0, v5, vcc_lo
	s_and_b32 s1, vcc_lo, s1
	s_add_u32 s2, s2, 8
	v_cndmask_b32_e64 v7, v7, s13, s1
	v_cndmask_b32_e64 v6, v6, s8, s1
	s_addc_u32 s3, s3, 0
	s_add_u32 s22, s22, 8
	s_addc_u32 s23, s23, 0
	s_cmp_lg_u32 s33, 0
	s_cbranch_scc1 .LBB6_94
.LBB6_95:
	s_inst_prefetch 0x2
	s_ashr_i32 s13, s12, 31
	v_mov_b32_e32 v6, 0
	s_lshl_b64 s[2:3], s[12:13], 3
	s_add_u32 s2, s10, s2
	s_addc_u32 s3, s11, s3
	s_lshl_b64 s[22:23], s[12:13], 2
	s_add_u32 s22, s16, s22
	s_addc_u32 s23, s17, s23
	global_store_dwordx4 v6, v[0:3], s[2:3] offset:-16
	global_store_dwordx2 v6, v[4:5], s[22:23] offset:-8
.LBB6_96:
	s_or_b32 exec_lo, exec_lo, s46
	s_mov_b32 s38, 0
	s_waitcnt_vscnt null, 0x0
	s_barrier
	buffer_gl0_inv
                                        ; implicit-def: $vgpr3_vgpr4
                                        ; implicit-def: $vgpr1_vgpr2
	s_and_saveexec_b32 s1, s0
	s_cbranch_execz .LBB6_120
; %bb.97:
	s_cmp_gt_i32 s7, 0
	s_mov_b32 s2, 1
	s_cselect_b32 s33, -1, 0
	s_cmp_lt_i32 s7, 1
	s_cbranch_scc1 .LBB6_105
; %bb.98:
	s_cmp_lg_u64 s[28:29], 0
	v_mov_b32_e32 v4, 0
	s_cselect_b32 s13, -1, 0
	s_add_u32 s3, s26, s18
	s_addc_u32 s19, s27, s19
	s_add_u32 s18, s3, 8
	s_addc_u32 s19, s19, 0
	s_branch .LBB6_100
.LBB6_99:                               ;   in Loop: Header=BB6_100 Depth=1
	s_add_i32 s2, s2, 1
	s_add_u32 s18, s18, 8
	s_addc_u32 s19, s19, 0
	s_cmp_lg_u32 s2, s12
	s_cbranch_scc0 .LBB6_105
.LBB6_100:                              ; =>This Loop Header: Depth=1
                                        ;     Child Loop BB6_101 Depth 2
	s_ashr_i32 s3, s2, 31
	s_add_i32 s27, s2, -1
	s_lshl_b64 s[22:23], s[2:3], 3
	s_mov_b64 s[36:37], s[18:19]
	s_add_u32 s22, s10, s22
	s_addc_u32 s23, s11, s23
	s_mov_b32 s38, s2
	global_load_dwordx2 v[0:1], v4, s[22:23] offset:-8
	s_mov_b32 s26, s27
	s_waitcnt vmcnt(0)
	v_mov_b32_e32 v3, v1
	v_mov_b32_e32 v2, v0
.LBB6_101:                              ;   Parent Loop BB6_100 Depth=1
                                        ; =>  This Inner Loop Header: Depth=2
	global_load_dwordx2 v[5:6], v4, s[36:37]
	s_waitcnt vmcnt(0)
	v_cmp_lt_f64_e32 vcc_lo, v[5:6], v[2:3]
	s_and_b32 s39, vcc_lo, exec_lo
	v_cndmask_b32_e32 v3, v3, v6, vcc_lo
	v_cndmask_b32_e32 v2, v2, v5, vcc_lo
	s_cselect_b32 s26, s38, s26
	s_add_i32 s38, s38, 1
	s_add_u32 s36, s36, 8
	s_addc_u32 s37, s37, 0
	s_cmp_eq_u32 s12, s38
	s_cbranch_scc0 .LBB6_101
; %bb.102:                              ;   in Loop: Header=BB6_100 Depth=1
	s_cmp_lg_u32 s26, s27
	s_cbranch_scc0 .LBB6_99
; %bb.103:                              ;   in Loop: Header=BB6_100 Depth=1
	s_ashr_i32 s27, s26, 31
	s_lshl_b64 s[36:37], s[26:27], 3
	s_add_u32 s36, s10, s36
	s_addc_u32 s37, s11, s37
	s_andn2_b32 vcc_lo, exec_lo, s13
	global_store_dwordx2 v4, v[0:1], s[36:37]
	global_store_dwordx2 v4, v[2:3], s[22:23] offset:-8
	s_cbranch_vccnz .LBB6_99
; %bb.104:                              ;   in Loop: Header=BB6_100 Depth=1
	s_lshl_b64 s[22:23], s[2:3], 2
	s_add_u32 s22, s16, s22
	s_addc_u32 s23, s17, s23
	s_lshl_b64 s[26:27], s[26:27], 2
	s_add_u32 s26, s16, s26
	s_addc_u32 s27, s17, s27
	s_clause 0x1
	global_load_dword v0, v4, s[22:23] offset:-4
	global_load_dword v1, v4, s[26:27]
	s_waitcnt vmcnt(1)
	global_store_dword v4, v0, s[26:27]
	s_waitcnt vmcnt(0)
	global_store_dword v4, v1, s[22:23] offset:-4
	s_branch .LBB6_99
.LBB6_105:
	s_ashr_i32 s13, s12, 31
	v_mov_b32_e32 v0, 0
	s_lshl_b64 s[2:3], s[12:13], 3
	v_cvt_f64_i32_e32 v[7:8], s7
	s_add_u32 s16, s10, s2
	s_addc_u32 s17, s11, s3
	s_clause 0x1
	global_load_dwordx2 v[1:2], v0, s[10:11]
	global_load_dwordx2 v[3:4], v0, s[16:17] offset:-8
	s_load_dwordx2 s[2:3], s[4:5], 0x18
	s_waitcnt vmcnt(0)
	v_cmp_lt_f64_e64 vcc_lo, |v[1:2]|, |v[3:4]|
	v_cndmask_b32_e32 v6, v2, v4, vcc_lo
	v_cndmask_b32_e32 v5, v1, v3, vcc_lo
	s_andn2_b32 vcc_lo, exec_lo, s33
	v_mul_f64 v[5:6], s[30:31], |v[5:6]|
	v_fma_f64 v[1:2], -v[5:6], v[7:8], v[1:2]
	v_fma_f64 v[3:4], v[5:6], v[7:8], v[3:4]
	v_add_f64 v[1:2], v[1:2], -s[8:9]
	v_add_f64 v[4:5], s[8:9], v[3:4]
	v_cndmask_b32_e64 v3, 0, 1, s33
	global_store_dwordx2 v0, v[1:2], s[10:11]
	global_store_dwordx2 v0, v[4:5], s[16:17] offset:-8
	s_cbranch_vccnz .LBB6_111
; %bb.106:
	s_max_i32 s7, s12, 2
	s_mov_b32 s13, 0
	s_add_i32 s7, s7, -1
	s_add_u32 s4, s28, s14
	s_addc_u32 s5, s29, s15
	s_add_u32 s4, s4, 4
	s_addc_u32 s5, s5, 0
	s_branch .LBB6_108
	.p2align	6
.LBB6_107:                              ;   in Loop: Header=BB6_108 Depth=1
	s_add_i32 s13, s13, 1
	s_add_u32 s4, s4, 4
	s_addc_u32 s5, s5, 0
	s_cmp_eq_u32 s7, s13
	s_mov_b32 s16, s7
	s_cselect_b32 s17, -1, 0
	s_andn2_b32 vcc_lo, exec_lo, s17
	s_cbranch_vccz .LBB6_110
.LBB6_108:                              ; =>This Inner Loop Header: Depth=1
	global_load_dword v1, v0, s[4:5]
	s_waitcnt vmcnt(0) lgkmcnt(0)
	v_cmp_le_i32_e32 vcc_lo, s2, v1
	s_cbranch_vccz .LBB6_107
; %bb.109:
	s_mov_b32 s16, s13
                                        ; implicit-def: $sgpr4_sgpr5
.LBB6_110:
	s_mov_b32 s17, 0
	s_branch .LBB6_112
.LBB6_111:
	s_mov_b64 s[16:17], 0
.LBB6_112:
	s_lshl_b64 s[4:5], s[16:17], 3
	v_mov_b32_e32 v0, 0
	s_add_u32 s4, s10, s4
	s_addc_u32 s5, s11, s5
	v_cmp_ne_u32_e32 vcc_lo, 1, v3
	s_mov_b32 s7, 1
	global_load_dwordx2 v[1:2], v0, s[4:5]
	s_cbranch_vccnz .LBB6_118
; %bb.113:
	s_max_i32 s12, s12, 2
	s_add_i32 s13, s12, -1
	s_waitcnt lgkmcnt(0)
	s_add_u32 s2, s28, s14
	s_addc_u32 s5, s29, s15
	s_add_u32 s4, s2, 4
	s_addc_u32 s5, s5, 0
	s_branch .LBB6_115
	.p2align	6
.LBB6_114:
	s_mov_b32 s2, s7
                                        ; implicit-def: $sgpr4_sgpr5
	s_branch .LBB6_117
.LBB6_115:                              ; =>This Inner Loop Header: Depth=1
	global_load_dword v3, v0, s[4:5]
	s_waitcnt vmcnt(0)
	v_cmp_gt_i32_e32 vcc_lo, s3, v3
	s_cbranch_vccz .LBB6_114
; %bb.116:                              ;   in Loop: Header=BB6_115 Depth=1
	s_add_i32 s7, s7, 1
	s_add_u32 s4, s4, 4
	s_addc_u32 s5, s5, 0
	s_cmp_eq_u32 s12, s7
	s_mov_b32 s2, s13
	s_cselect_b32 s14, -1, 0
	s_andn2_b32 vcc_lo, exec_lo, s14
	s_cbranch_vccnz .LBB6_115
.LBB6_117:
	s_ashr_i32 s3, s2, 31
	s_branch .LBB6_119
.LBB6_118:
	s_waitcnt lgkmcnt(0)
	s_mov_b64 s[2:3], 0
.LBB6_119:
	s_lshl_b64 s[2:3], s[2:3], 3
	v_mov_b32_e32 v0, 0
	s_add_u32 s2, s10, s2
	s_addc_u32 s3, s11, s3
	s_mov_b32 s38, exec_lo
	global_load_dwordx2 v[3:4], v0, s[2:3]
.LBB6_120:
	s_or_b32 exec_lo, exec_lo, s1
.LBB6_121:
	s_and_saveexec_b32 s1, s38
	s_cbranch_execz .LBB6_124
; %bb.122:
	s_and_b32 exec_lo, exec_lo, s0
	s_cbranch_execz .LBB6_124
; %bb.123:
	s_lshl_b64 s[0:1], s[34:35], 3
	v_mov_b32_e32 v5, s8
	s_add_u32 s0, s20, s0
	s_addc_u32 s1, s21, s1
	s_lshl_b32 s2, s34, 1
	v_mov_b32_e32 v0, 0
	s_ashr_i32 s3, s2, 31
	v_mov_b32_e32 v6, s9
	s_lshl_b64 s[2:3], s[2:3], 3
	s_add_u32 s2, s24, s2
	s_addc_u32 s3, s25, s3
	s_cmpk_eq_i32 s6, 0xe7
	s_cselect_b32 s4, -1, 0
	s_waitcnt vmcnt(0)
	v_cndmask_b32_e64 v4, v4, 0, s4
	v_cndmask_b32_e64 v3, v3, 0, s4
	;; [unrolled: 1-line block ×4, first 2 shown]
	global_store_dwordx2 v0, v[5:6], s[0:1]
	global_store_dwordx4 v0, v[1:4], s[2:3]
.LBB6_124:
	s_endpgm
	.section	.rodata,"a",@progbits
	.p2align	6, 0x0
	.amdhsa_kernel _ZN9rocsolver6v33100L22stebz_splitting_kernelIdPdEEv15rocblas_erange_iT_S4_iiT0_iiS5_iiPiPS4_lS6_lS6_S7_S7_S7_S7_S6_S4_S4_
		.amdhsa_group_segment_fixed_size 3072
		.amdhsa_private_segment_fixed_size 0
		.amdhsa_kernarg_size 168
		.amdhsa_user_sgpr_count 6
		.amdhsa_user_sgpr_private_segment_buffer 1
		.amdhsa_user_sgpr_dispatch_ptr 0
		.amdhsa_user_sgpr_queue_ptr 0
		.amdhsa_user_sgpr_kernarg_segment_ptr 1
		.amdhsa_user_sgpr_dispatch_id 0
		.amdhsa_user_sgpr_flat_scratch_init 0
		.amdhsa_user_sgpr_private_segment_size 0
		.amdhsa_wavefront_size32 1
		.amdhsa_uses_dynamic_stack 0
		.amdhsa_system_sgpr_private_segment_wavefront_offset 0
		.amdhsa_system_sgpr_workgroup_id_x 1
		.amdhsa_system_sgpr_workgroup_id_y 1
		.amdhsa_system_sgpr_workgroup_id_z 0
		.amdhsa_system_sgpr_workgroup_info 0
		.amdhsa_system_vgpr_workitem_id 0
		.amdhsa_next_free_vgpr 26
		.amdhsa_next_free_sgpr 54
		.amdhsa_reserve_vcc 1
		.amdhsa_reserve_flat_scratch 0
		.amdhsa_float_round_mode_32 0
		.amdhsa_float_round_mode_16_64 0
		.amdhsa_float_denorm_mode_32 3
		.amdhsa_float_denorm_mode_16_64 3
		.amdhsa_dx10_clamp 1
		.amdhsa_ieee_mode 1
		.amdhsa_fp16_overflow 0
		.amdhsa_workgroup_processor_mode 1
		.amdhsa_memory_ordered 1
		.amdhsa_forward_progress 1
		.amdhsa_shared_vgpr_count 0
		.amdhsa_exception_fp_ieee_invalid_op 0
		.amdhsa_exception_fp_denorm_src 0
		.amdhsa_exception_fp_ieee_div_zero 0
		.amdhsa_exception_fp_ieee_overflow 0
		.amdhsa_exception_fp_ieee_underflow 0
		.amdhsa_exception_fp_ieee_inexact 0
		.amdhsa_exception_int_div_zero 0
	.end_amdhsa_kernel
	.section	.text._ZN9rocsolver6v33100L22stebz_splitting_kernelIdPdEEv15rocblas_erange_iT_S4_iiT0_iiS5_iiPiPS4_lS6_lS6_S7_S7_S7_S7_S6_S4_S4_,"axG",@progbits,_ZN9rocsolver6v33100L22stebz_splitting_kernelIdPdEEv15rocblas_erange_iT_S4_iiT0_iiS5_iiPiPS4_lS6_lS6_S7_S7_S7_S7_S6_S4_S4_,comdat
.Lfunc_end6:
	.size	_ZN9rocsolver6v33100L22stebz_splitting_kernelIdPdEEv15rocblas_erange_iT_S4_iiT0_iiS5_iiPiPS4_lS6_lS6_S7_S7_S7_S7_S6_S4_S4_, .Lfunc_end6-_ZN9rocsolver6v33100L22stebz_splitting_kernelIdPdEEv15rocblas_erange_iT_S4_iiT0_iiS5_iiPiPS4_lS6_lS6_S7_S7_S7_S7_S6_S4_S4_
                                        ; -- End function
	.set _ZN9rocsolver6v33100L22stebz_splitting_kernelIdPdEEv15rocblas_erange_iT_S4_iiT0_iiS5_iiPiPS4_lS6_lS6_S7_S7_S7_S7_S6_S4_S4_.num_vgpr, 26
	.set _ZN9rocsolver6v33100L22stebz_splitting_kernelIdPdEEv15rocblas_erange_iT_S4_iiT0_iiS5_iiPiPS4_lS6_lS6_S7_S7_S7_S7_S6_S4_S4_.num_agpr, 0
	.set _ZN9rocsolver6v33100L22stebz_splitting_kernelIdPdEEv15rocblas_erange_iT_S4_iiT0_iiS5_iiPiPS4_lS6_lS6_S7_S7_S7_S7_S6_S4_S4_.numbered_sgpr, 54
	.set _ZN9rocsolver6v33100L22stebz_splitting_kernelIdPdEEv15rocblas_erange_iT_S4_iiT0_iiS5_iiPiPS4_lS6_lS6_S7_S7_S7_S7_S6_S4_S4_.num_named_barrier, 0
	.set _ZN9rocsolver6v33100L22stebz_splitting_kernelIdPdEEv15rocblas_erange_iT_S4_iiT0_iiS5_iiPiPS4_lS6_lS6_S7_S7_S7_S7_S6_S4_S4_.private_seg_size, 0
	.set _ZN9rocsolver6v33100L22stebz_splitting_kernelIdPdEEv15rocblas_erange_iT_S4_iiT0_iiS5_iiPiPS4_lS6_lS6_S7_S7_S7_S7_S6_S4_S4_.uses_vcc, 1
	.set _ZN9rocsolver6v33100L22stebz_splitting_kernelIdPdEEv15rocblas_erange_iT_S4_iiT0_iiS5_iiPiPS4_lS6_lS6_S7_S7_S7_S7_S6_S4_S4_.uses_flat_scratch, 0
	.set _ZN9rocsolver6v33100L22stebz_splitting_kernelIdPdEEv15rocblas_erange_iT_S4_iiT0_iiS5_iiPiPS4_lS6_lS6_S7_S7_S7_S7_S6_S4_S4_.has_dyn_sized_stack, 0
	.set _ZN9rocsolver6v33100L22stebz_splitting_kernelIdPdEEv15rocblas_erange_iT_S4_iiT0_iiS5_iiPiPS4_lS6_lS6_S7_S7_S7_S7_S6_S4_S4_.has_recursion, 0
	.set _ZN9rocsolver6v33100L22stebz_splitting_kernelIdPdEEv15rocblas_erange_iT_S4_iiT0_iiS5_iiPiPS4_lS6_lS6_S7_S7_S7_S7_S6_S4_S4_.has_indirect_call, 0
	.section	.AMDGPU.csdata,"",@progbits
; Kernel info:
; codeLenInByte = 6376
; TotalNumSgprs: 56
; NumVgprs: 26
; ScratchSize: 0
; MemoryBound: 0
; FloatMode: 240
; IeeeMode: 1
; LDSByteSize: 3072 bytes/workgroup (compile time only)
; SGPRBlocks: 0
; VGPRBlocks: 3
; NumSGPRsForWavesPerEU: 56
; NumVGPRsForWavesPerEU: 26
; Occupancy: 16
; WaveLimiterHint : 0
; COMPUTE_PGM_RSRC2:SCRATCH_EN: 0
; COMPUTE_PGM_RSRC2:USER_SGPR: 6
; COMPUTE_PGM_RSRC2:TRAP_HANDLER: 0
; COMPUTE_PGM_RSRC2:TGID_X_EN: 1
; COMPUTE_PGM_RSRC2:TGID_Y_EN: 1
; COMPUTE_PGM_RSRC2:TGID_Z_EN: 0
; COMPUTE_PGM_RSRC2:TIDIG_COMP_CNT: 0
	.section	.text._ZN9rocsolver6v33100L22stebz_bisection_kernelIdPdEEv15rocblas_erange_iT_T0_iiS5_iiPiPS4_lS6_lS6_lS6_S6_S7_S7_S7_S7_S6_S4_S4_,"axG",@progbits,_ZN9rocsolver6v33100L22stebz_bisection_kernelIdPdEEv15rocblas_erange_iT_T0_iiS5_iiPiPS4_lS6_lS6_lS6_S6_S7_S7_S7_S7_S6_S4_S4_,comdat
	.globl	_ZN9rocsolver6v33100L22stebz_bisection_kernelIdPdEEv15rocblas_erange_iT_T0_iiS5_iiPiPS4_lS6_lS6_lS6_S6_S7_S7_S7_S7_S6_S4_S4_ ; -- Begin function _ZN9rocsolver6v33100L22stebz_bisection_kernelIdPdEEv15rocblas_erange_iT_T0_iiS5_iiPiPS4_lS6_lS6_lS6_S6_S7_S7_S7_S7_S6_S4_S4_
	.p2align	8
	.type	_ZN9rocsolver6v33100L22stebz_bisection_kernelIdPdEEv15rocblas_erange_iT_T0_iiS5_iiPiPS4_lS6_lS6_lS6_S6_S7_S7_S7_S7_S6_S4_S4_,@function
_ZN9rocsolver6v33100L22stebz_bisection_kernelIdPdEEv15rocblas_erange_iT_T0_iiS5_iiPiPS4_lS6_lS6_lS6_S6_S7_S7_S7_S7_S6_S4_S4_: ; @_ZN9rocsolver6v33100L22stebz_bisection_kernelIdPdEEv15rocblas_erange_iT_T0_iiS5_iiPiPS4_lS6_lS6_lS6_S6_S7_S7_S7_S7_S6_S4_S4_
; %bb.0:
	s_load_dwordx16 s[8:23], s[4:5], 0x30
	s_mov_b32 s2, s7
	s_ashr_i32 s3, s7, 31
	s_lshl_b64 s[54:55], s[2:3], 2
	s_waitcnt lgkmcnt(0)
	s_add_u32 s0, s8, s54
	s_addc_u32 s1, s9, s55
	s_load_dword s33, s[0:1], 0x0
	s_waitcnt lgkmcnt(0)
	s_cmp_ge_i32 s6, s33
	s_cbranch_scc1 .LBB7_85
; %bb.1:
	s_clause 0x3
	s_load_dwordx8 s[24:31], s[4:5], 0x8
	s_load_dwordx2 s[0:1], s[4:5], 0x28
	s_load_dwordx2 s[34:35], s[4:5], 0x0
	s_load_dwordx8 s[36:43], s[4:5], 0x70
	s_mul_i32 s7, s12, s3
	s_mul_hi_u32 s9, s12, s2
	s_mul_i32 s46, s13, s2
	s_mul_i32 s8, s12, s2
	s_mov_b32 s48, 0x55555780
	s_mov_b32 s50, 0xfefa39ef
	;; [unrolled: 1-line block ×5, first 2 shown]
	v_lshl_or_b32 v19, v0, 2, 0x1800
	v_lshlrev_b32_e32 v20, 5, v0
	v_lshl_or_b32 v21, v0, 4, 0x1000
	v_mov_b32_e32 v22, 0
	v_mov_b32_e32 v23, 1
                                        ; implicit-def: $vgpr24
	s_waitcnt lgkmcnt(0)
	s_mul_hi_i32 s45, s29, s2
	s_mul_i32 s44, s29, s2
	s_ashr_i32 s13, s28, 31
	s_lshl_b64 s[56:57], s[44:45], 3
	s_mov_b32 s12, s28
	s_add_u32 s29, s26, s56
	s_addc_u32 s47, s27, s57
	s_lshl_b64 s[60:61], s[12:13], 3
	s_mul_hi_i32 s45, s1, s2
	s_mul_i32 s44, s1, s2
	s_add_u32 s64, s29, s60
	s_addc_u32 s65, s47, s61
	s_lshl_b64 s[58:59], s[44:45], 3
	s_mov_b32 s28, s0
	s_ashr_i32 s29, s0, 31
	s_add_u32 s0, s30, s58
	s_addc_u32 s1, s31, s59
	s_lshl_b64 s[62:63], s[28:29], 3
	s_mul_i32 s12, s16, s3
	s_add_u32 s66, s0, s62
	s_addc_u32 s67, s1, s63
	s_add_i32 s0, s9, s7
	s_mul_hi_u32 s7, s16, s2
	s_add_i32 s9, s0, s46
	s_mul_i32 s13, s17, s2
	s_lshl_b64 s[0:1], s[8:9], 3
	s_mul_i32 s8, s16, s2
	s_add_u32 s68, s10, s0
	s_addc_u32 s69, s11, s1
	s_add_i32 s0, s7, s12
	s_mul_i32 s7, s20, s3
	s_add_i32 s9, s0, s13
	s_mul_hi_u32 s10, s20, s2
	s_lshl_b64 s[0:1], s[8:9], 2
	s_mul_i32 s8, s21, s2
	s_add_u32 s70, s14, s0
	s_addc_u32 s71, s15, s1
	s_add_i32 s1, s10, s7
	s_mul_i32 s0, s20, s2
	s_add_i32 s1, s1, s8
	s_mov_b32 s20, 0x55555555
	s_lshl_b64 s[0:1], s[0:1], 2
	s_mov_b32 s21, 0x3fe55555
	s_add_u32 s72, s18, s0
	s_addc_u32 s73, s19, s1
	s_add_i32 s0, s35, -1
	s_mov_b32 s28, 0x6b47b09a
	s_mul_i32 s0, s0, s2
	s_mov_b32 s29, 0x3fc38538
	s_ashr_i32 s1, s0, 31
	s_mov_b32 s44, 0x9b27acf1
	s_lshl_b64 s[0:1], s[0:1], 3
	s_mov_b32 s45, 0x3fd24924
	s_add_u32 s74, s40, s0
	s_addc_u32 s75, s41, s1
	s_lshl_b32 s0, s2, 1
	s_mov_b32 s40, 0xd7f4df2e
	s_ashr_i32 s1, s0, 31
	s_mov_b32 s41, 0x3fc7474d
	s_lshl_b64 s[0:1], s[0:1], 3
	s_mov_b32 s46, 0x998ef7b6
	s_add_u32 s16, s42, s0
	s_addc_u32 s17, s43, s1
	s_lshl_b64 s[0:1], s[2:3], 3
	s_mov_b32 s42, 0x16291751
	s_add_u32 s0, s38, s0
	s_addc_u32 s1, s39, s1
	s_mov_b32 s38, 0xbf559e2b
	s_load_dwordx2 s[18:19], s[0:1], 0x0
	s_mov_b32 s39, 0x3fc3ab76
	s_mov_b32 s43, 0x3fcc71c0
	;; [unrolled: 1-line block ×4, first 2 shown]
	s_load_dwordx8 s[8:15], s[4:5], 0x90
	s_mul_i32 s2, s35, s2
	s_waitcnt lgkmcnt(0)
	s_add_u32 s14, s22, s54
	s_addc_u32 s15, s23, s55
	s_lshl_b32 s4, s2, 2
	v_cmp_eq_u32_e64 s0, 0, v0
	s_ashr_i32 s5, s4, 31
	v_cmp_ne_u32_e64 s1, 0, v0
	s_lshl_b64 s[22:23], s[4:5], 3
	v_frexp_mant_f64_e32 v[1:2], s[18:19]
	v_cmp_class_f64_e64 s7, s[18:19], 0x204
	s_add_u32 s76, s8, s22
	s_addc_u32 s77, s9, s23
	s_lshl_b64 s[4:5], s[4:5], 2
	s_add_u32 s78, s10, s4
	s_addc_u32 s79, s11, s5
	s_ashr_i32 s3, s2, 31
	s_lshl_b64 s[4:5], s[2:3], 2
	v_cmp_lt_f64_e64 s2, s[24:25], 0
	s_add_u32 s80, s36, s4
	s_addc_u32 s81, s37, s5
	s_cmpk_lg_i32 s34, 0xe7
	s_cselect_b32 s34, -1, 0
	s_add_u32 s3, s56, s60
	s_addc_u32 s4, s57, s61
	v_cmp_gt_f64_e32 vcc_lo, s[20:21], v[1:2]
	s_add_u32 s3, s26, s3
	s_addc_u32 s4, s27, s4
	s_add_u32 s56, s3, 8
	s_addc_u32 s57, s4, 0
	;; [unrolled: 2-line block ×5, first 2 shown]
                                        ; implicit-def: $sgpr60
                                        ; implicit-def: $sgpr61
                                        ; implicit-def: $sgpr62
                                        ; implicit-def: $sgpr63
	v_cndmask_b32_e64 v3, 0, 1, vcc_lo
	v_ldexp_f64 v[1:2], v[1:2], v3
	v_add_f64 v[3:4], v[1:2], 1.0
	v_add_f64 v[9:10], v[1:2], -1.0
	v_rcp_f64_e32 v[5:6], v[3:4]
	v_add_f64 v[11:12], v[3:4], -1.0
	v_add_f64 v[1:2], v[1:2], -v[11:12]
	v_fma_f64 v[7:8], -v[3:4], v[5:6], 1.0
	v_fma_f64 v[5:6], v[7:8], v[5:6], v[5:6]
	v_fma_f64 v[7:8], -v[3:4], v[5:6], 1.0
	v_fma_f64 v[5:6], v[7:8], v[5:6], v[5:6]
	v_mul_f64 v[7:8], v[9:10], v[5:6]
	v_mul_f64 v[13:14], v[3:4], v[7:8]
	v_fma_f64 v[3:4], v[7:8], v[3:4], -v[13:14]
	v_fma_f64 v[1:2], v[7:8], v[1:2], v[3:4]
	v_add_f64 v[3:4], v[13:14], v[1:2]
	v_add_f64 v[11:12], v[9:10], -v[3:4]
	v_add_f64 v[13:14], v[3:4], -v[13:14]
	;; [unrolled: 1-line block ×4, first 2 shown]
	v_frexp_exp_i32_f64_e32 v13, s[18:19]
	v_add_f64 v[3:4], v[9:10], -v[3:4]
	v_add_f64 v[1:2], v[1:2], v[3:4]
	v_add_f64 v[1:2], v[11:12], v[1:2]
	v_mul_f64 v[1:2], v[5:6], v[1:2]
	v_add_f64 v[3:4], v[7:8], v[1:2]
	v_mul_f64 v[5:6], v[3:4], v[3:4]
	v_fma_f64 v[9:10], v[5:6], s[38:39], s[28:29]
	v_mul_f64 v[11:12], v[3:4], v[5:6]
	v_fma_f64 v[9:10], v[5:6], v[9:10], s[40:41]
	v_fma_f64 v[9:10], v[5:6], v[9:10], s[42:43]
	;; [unrolled: 1-line block ×5, first 2 shown]
	v_ldexp_f64 v[9:10], v[3:4], 1
	v_add_f64 v[3:4], v[3:4], -v[7:8]
	v_mul_f64 v[5:6], v[11:12], v[5:6]
	v_subrev_co_ci_u32_e64 v11, null, 0, v13, vcc_lo
	v_add_f64 v[1:2], v[1:2], -v[3:4]
	v_cmp_nlt_f64_e64 vcc_lo, s[18:19], 0
	v_cvt_f64_i32_e32 v[11:12], v11
	v_add_f64 v[7:8], v[9:10], v[5:6]
	v_ldexp_f64 v[1:2], v[1:2], 1
	v_mul_f64 v[13:14], v[11:12], s[50:51]
	v_add_f64 v[3:4], v[7:8], -v[9:10]
	v_fma_f64 v[9:10], v[11:12], s[50:51], -v[13:14]
	v_add_f64 v[3:4], v[5:6], -v[3:4]
	v_fma_f64 v[5:6], v[11:12], s[52:53], v[9:10]
	v_add_f64 v[1:2], v[1:2], v[3:4]
	v_add_f64 v[3:4], v[13:14], v[5:6]
	;; [unrolled: 1-line block ×3, first 2 shown]
	v_add_f64 v[13:14], v[3:4], -v[13:14]
	v_add_f64 v[11:12], v[3:4], v[9:10]
	v_add_f64 v[7:8], v[9:10], -v[7:8]
	v_add_f64 v[5:6], v[5:6], -v[13:14]
	;; [unrolled: 1-line block ×6, first 2 shown]
	v_add_f64 v[9:10], v[5:6], v[1:2]
	v_add_f64 v[3:4], v[3:4], -v[17:18]
	v_add_f64 v[3:4], v[7:8], v[3:4]
	v_add_f64 v[7:8], v[9:10], -v[5:6]
	;; [unrolled: 2-line block ×3, first 2 shown]
	v_add_f64 v[1:2], v[1:2], -v[7:8]
	v_add_f64 v[13:14], v[11:12], v[3:4]
	v_add_f64 v[5:6], v[5:6], -v[9:10]
	v_add_f64 v[7:8], v[13:14], -v[11:12]
	v_add_f64 v[1:2], v[1:2], v[5:6]
	v_add_f64 v[3:4], v[3:4], -v[7:8]
	v_add_f64 v[1:2], v[1:2], v[3:4]
	v_add_f64 v[1:2], v[13:14], v[1:2]
	;; [unrolled: 1-line block ×3, first 2 shown]
	v_cndmask_b32_e64 v2, v2, s19, s7
	v_cndmask_b32_e64 v1, v1, s18, s7
	v_cndmask_b32_e32 v2, 0x7ff80000, v2, vcc_lo
	v_cmp_nle_f64_e64 vcc_lo, s[18:19], 0
	v_cndmask_b32_e32 v15, 0, v1, vcc_lo
	v_cmp_neq_f64_e64 vcc_lo, s[18:19], 0
	v_cndmask_b32_e32 v16, 0xfff00000, v2, vcc_lo
	s_branch .LBB7_4
.LBB7_2:                                ;   in Loop: Header=BB7_4 Depth=1
	s_or_b32 exec_lo, exec_lo, s3
	v_mov_b32_e32 v4, v24
	s_mov_b32 s49, s63
	s_mov_b32 s7, s62
	;; [unrolled: 1-line block ×4, first 2 shown]
.LBB7_3:                                ;   in Loop: Header=BB7_4 Depth=1
	v_mov_b32_e32 v24, v4
	s_add_i32 s6, s6, 64
	s_mov_b32 s60, s9
	s_cmp_lt_i32 s6, s33
	s_mov_b32 s61, s54
	s_mov_b32 s62, s7
	;; [unrolled: 1-line block ×3, first 2 shown]
	s_waitcnt vmcnt(0)
	s_waitcnt_vscnt null, 0x0
	s_barrier
	buffer_gl0_inv
	s_cbranch_scc0 .LBB7_85
.LBB7_4:                                ; =>This Loop Header: Depth=1
                                        ;     Child Loop BB7_9 Depth 2
                                        ;     Child Loop BB7_20 Depth 2
	;; [unrolled: 1-line block ×4, first 2 shown]
                                        ;       Child Loop BB7_37 Depth 3
                                        ;         Child Loop BB7_40 Depth 4
                                        ;         Child Loop BB7_53 Depth 4
                                        ;     Child Loop BB7_69 Depth 2
                                        ;       Child Loop BB7_71 Depth 3
	s_ashr_i32 s7, s6, 31
	s_cmp_eq_u32 s6, 0
	s_mov_b32 s8, 0
	s_cbranch_scc1 .LBB7_6
; %bb.5:                                ;   in Loop: Header=BB7_4 Depth=1
	s_lshl_b64 s[4:5], s[6:7], 2
	s_add_u32 s4, s72, s4
	s_addc_u32 s5, s73, s5
	global_load_dword v1, v22, s[4:5] offset:-4
	s_waitcnt vmcnt(0)
	v_readfirstlane_b32 s8, v1
.LBB7_6:                                ;   in Loop: Header=BB7_4 Depth=1
	s_lshl_b64 s[10:11], s[6:7], 2
	s_add_u32 s4, s72, s10
	s_addc_u32 s5, s73, s11
	global_load_dword v1, v22, s[4:5]
	s_waitcnt vmcnt(0)
	v_readfirstlane_b32 s82, v1
	s_sub_i32 s26, s82, s8
	s_cmp_lg_u32 s26, 1
	s_cbranch_scc0 .LBB7_63
; %bb.7:                                ;   in Loop: Header=BB7_4 Depth=1
	s_ashr_i32 s9, s8, 31
	s_lshl_b64 s[4:5], s[8:9], 3
	s_add_u32 s22, s64, s4
	s_addc_u32 s23, s65, s5
	s_add_u32 s30, s66, s4
	s_addc_u32 s31, s67, s5
	s_clause 0x1
	global_load_dwordx2 v[9:10], v22, s[22:23]
	global_load_dwordx2 v[5:6], v22, s[30:31]
	s_cmp_lt_i32 s26, 3
	s_waitcnt vmcnt(0)
	v_add_f64 v[1:2], v[9:10], -|v[5:6]|
	v_add_f64 v[3:4], v[9:10], |v[5:6]|
	v_and_b32_e32 v6, 0x7fffffff, v6
	s_cbranch_scc1 .LBB7_10
; %bb.8:                                ;   in Loop: Header=BB7_4 Depth=1
	s_add_i32 s7, s26, -2
	s_add_u32 s30, s56, s4
	s_addc_u32 s31, s57, s5
	s_add_u32 s36, s58, s4
	s_addc_u32 s37, s59, s5
	.p2align	6
.LBB7_9:                                ;   Parent Loop BB7_4 Depth=1
                                        ; =>  This Inner Loop Header: Depth=2
	s_clause 0x1
	global_load_dwordx2 v[7:8], v22, s[30:31]
	global_load_dwordx2 v[11:12], v22, s[36:37]
	s_add_i32 s7, s7, -1
	s_add_u32 s30, s30, 8
	s_addc_u32 s31, s31, 0
	s_add_u32 s36, s36, 8
	s_addc_u32 s37, s37, 0
	s_cmp_lg_u32 s7, 0
	s_waitcnt vmcnt(1)
	v_add_f64 v[17:18], v[7:8], -v[5:6]
	v_add_f64 v[5:6], v[5:6], v[7:8]
	s_waitcnt vmcnt(0)
	v_add_f64 v[7:8], v[17:18], -|v[11:12]|
	v_add_f64 v[17:18], v[5:6], |v[11:12]|
	v_and_b32_e32 v6, 0x7fffffff, v12
	v_mov_b32_e32 v5, v11
	v_cmp_lt_f64_e32 vcc_lo, v[7:8], v[1:2]
	v_cmp_lt_f64_e64 s3, v[3:4], v[17:18]
	v_cndmask_b32_e32 v2, v2, v8, vcc_lo
	v_cndmask_b32_e64 v4, v4, v18, s3
	v_cndmask_b32_e32 v1, v1, v7, vcc_lo
	v_cndmask_b32_e64 v3, v3, v17, s3
	s_cbranch_scc1 .LBB7_9
.LBB7_10:                               ;   in Loop: Header=BB7_4 Depth=1
	s_ashr_i32 s27, s26, 31
	s_lshl_b64 s[30:31], s[26:27], 3
	s_add_u32 s30, s22, s30
	s_addc_u32 s31, s23, s31
	global_load_dwordx2 v[7:8], v22, s[30:31] offset:-8
	s_waitcnt vmcnt(0)
	v_add_f64 v[11:12], v[7:8], -v[5:6]
	v_add_f64 v[5:6], v[5:6], v[7:8]
	v_cmp_lt_f64_e32 vcc_lo, v[11:12], v[1:2]
	v_cmp_lt_f64_e64 s3, v[3:4], v[5:6]
	v_cndmask_b32_e32 v7, v2, v12, vcc_lo
	v_cndmask_b32_e64 v4, v4, v6, s3
	v_cndmask_b32_e32 v6, v1, v11, vcc_lo
	v_cndmask_b32_e64 v3, v3, v5, s3
	v_cvt_f64_i32_e32 v[11:12], s26
	v_cmp_lt_f64_e64 vcc_lo, |v[6:7]|, |v[3:4]|
	v_cndmask_b32_e32 v2, v7, v4, vcc_lo
	v_cndmask_b32_e32 v1, v6, v3, vcc_lo
	s_andn2_b32 vcc_lo, exec_lo, s34
	v_mul_f64 v[1:2], s[12:13], |v[1:2]|
	v_fma_f64 v[5:6], -v[1:2], v[11:12], v[6:7]
	v_fma_f64 v[3:4], v[1:2], v[11:12], v[3:4]
	v_add_f64 v[5:6], v[5:6], -s[18:19]
	v_add_f64 v[7:8], s[18:19], v[3:4]
	s_cbranch_vccnz .LBB7_12
; %bb.11:                               ;   in Loop: Header=BB7_4 Depth=1
	global_load_dwordx4 v[25:28], v22, s[16:17]
	s_waitcnt vmcnt(0)
	v_cmp_lt_f64_e32 vcc_lo, v[5:6], v[25:26]
	v_cmp_lt_f64_e64 s3, v[27:28], v[7:8]
	v_cndmask_b32_e32 v6, v6, v26, vcc_lo
	v_cndmask_b32_e64 v8, v8, v28, s3
	v_cndmask_b32_e32 v5, v5, v25, vcc_lo
	v_cndmask_b32_e64 v7, v7, v27, s3
.LBB7_12:                               ;   in Loop: Header=BB7_4 Depth=1
	v_cmp_nlt_f64_e32 vcc_lo, v[5:6], v[7:8]
	s_mov_b32 s3, -1
	s_cbranch_vccz .LBB7_16
; %bb.13:                               ;   in Loop: Header=BB7_4 Depth=1
	s_and_saveexec_b32 s3, s0
	s_cbranch_execz .LBB7_15
; %bb.14:                               ;   in Loop: Header=BB7_4 Depth=1
	s_add_u32 s30, s80, s10
	s_addc_u32 s31, s81, s11
	ds_write_b16 v22, v22 offset:6660
	global_store_dword v22, v22, s[30:31]
.LBB7_15:                               ;   in Loop: Header=BB7_4 Depth=1
	s_or_b32 exec_lo, exec_lo, s3
	s_mov_b32 s3, 0
.LBB7_16:                               ;   in Loop: Header=BB7_4 Depth=1
	v_mov_b32_e32 v4, v24
	s_mov_b32 s49, s63
	s_andn2_b32 vcc_lo, exec_lo, s3
	s_mov_b32 s7, s62
	s_mov_b32 s9, s60
	s_cbranch_vccnz .LBB7_29
; %bb.17:                               ;   in Loop: Header=BB7_4 Depth=1
	v_add_f64 v[3:4], v[7:8], -v[5:6]
	s_mov_b32 s49, s21
	v_add_f64 v[3:4], s[18:19], v[3:4]
	v_frexp_mant_f64_e32 v[11:12], v[3:4]
	v_cmp_gt_f64_e32 vcc_lo, s[20:21], v[11:12]
	v_cndmask_b32_e64 v17, 0, 1, vcc_lo
	v_ldexp_f64 v[11:12], v[11:12], v17
	v_add_f64 v[17:18], v[11:12], 1.0
	v_add_f64 v[29:30], v[11:12], -1.0
	v_rcp_f64_e32 v[25:26], v[17:18]
	v_add_f64 v[31:32], v[17:18], -1.0
	v_add_f64 v[11:12], v[11:12], -v[31:32]
	v_fma_f64 v[27:28], -v[17:18], v[25:26], 1.0
	v_fma_f64 v[25:26], v[27:28], v[25:26], v[25:26]
	v_fma_f64 v[27:28], -v[17:18], v[25:26], 1.0
	v_fma_f64 v[25:26], v[27:28], v[25:26], v[25:26]
	v_mul_f64 v[27:28], v[29:30], v[25:26]
	v_mul_f64 v[33:34], v[17:18], v[27:28]
	v_fma_f64 v[17:18], v[27:28], v[17:18], -v[33:34]
	v_fma_f64 v[11:12], v[27:28], v[11:12], v[17:18]
	v_add_f64 v[17:18], v[33:34], v[11:12]
	v_add_f64 v[31:32], v[29:30], -v[17:18]
	v_add_f64 v[33:34], v[17:18], -v[33:34]
	;; [unrolled: 1-line block ×4, first 2 shown]
	v_frexp_exp_i32_f64_e32 v33, v[3:4]
	v_add_f64 v[17:18], v[29:30], -v[17:18]
	v_add_f64 v[11:12], v[11:12], v[17:18]
	v_add_f64 v[11:12], v[31:32], v[11:12]
	v_mul_f64 v[11:12], v[25:26], v[11:12]
	v_add_f64 v[17:18], v[27:28], v[11:12]
	v_mul_f64 v[25:26], v[17:18], v[17:18]
	v_fma_f64 v[29:30], v[25:26], s[38:39], s[28:29]
	v_mul_f64 v[31:32], v[17:18], v[25:26]
	v_fma_f64 v[29:30], v[25:26], v[29:30], s[40:41]
	v_fma_f64 v[29:30], v[25:26], v[29:30], s[42:43]
	;; [unrolled: 1-line block ×5, first 2 shown]
	v_ldexp_f64 v[29:30], v[17:18], 1
	v_add_f64 v[17:18], v[17:18], -v[27:28]
	v_mul_f64 v[25:26], v[31:32], v[25:26]
	v_subrev_co_ci_u32_e64 v31, null, 0, v33, vcc_lo
	v_add_f64 v[11:12], v[11:12], -v[17:18]
	v_cmp_class_f64_e64 vcc_lo, v[3:4], 0x204
	v_cvt_f64_i32_e32 v[31:32], v31
	v_add_f64 v[27:28], v[29:30], v[25:26]
	v_ldexp_f64 v[11:12], v[11:12], 1
	v_mul_f64 v[33:34], v[31:32], s[50:51]
	v_add_f64 v[17:18], v[27:28], -v[29:30]
	v_fma_f64 v[29:30], v[31:32], s[50:51], -v[33:34]
	v_add_f64 v[17:18], v[25:26], -v[17:18]
	v_fma_f64 v[25:26], v[31:32], s[52:53], v[29:30]
	v_add_f64 v[11:12], v[11:12], v[17:18]
	v_add_f64 v[17:18], v[33:34], v[25:26]
	;; [unrolled: 1-line block ×3, first 2 shown]
	v_add_f64 v[33:34], v[17:18], -v[33:34]
	v_add_f64 v[31:32], v[17:18], v[29:30]
	v_add_f64 v[27:28], v[29:30], -v[27:28]
	v_add_f64 v[25:26], v[25:26], -v[33:34]
	;; [unrolled: 1-line block ×6, first 2 shown]
	v_add_f64 v[29:30], v[25:26], v[11:12]
	v_add_f64 v[17:18], v[17:18], -v[37:38]
	v_add_f64 v[17:18], v[27:28], v[17:18]
	v_add_f64 v[27:28], v[29:30], -v[25:26]
	;; [unrolled: 2-line block ×3, first 2 shown]
	v_add_f64 v[11:12], v[11:12], -v[27:28]
	v_add_f64 v[33:34], v[31:32], v[17:18]
	v_add_f64 v[25:26], v[25:26], -v[29:30]
	v_add_f64 v[27:28], v[33:34], -v[31:32]
	v_add_f64 v[11:12], v[11:12], v[25:26]
	v_add_f64 v[17:18], v[17:18], -v[27:28]
	v_add_f64 v[11:12], v[11:12], v[17:18]
	v_add_f64 v[11:12], v[33:34], v[11:12]
	v_cndmask_b32_e32 v11, v11, v3, vcc_lo
	v_cndmask_b32_e32 v12, v12, v4, vcc_lo
	v_cmp_ngt_f64_e32 vcc_lo, 0, v[3:4]
	v_cndmask_b32_e32 v12, 0x7ff80000, v12, vcc_lo
	v_cmp_nge_f64_e32 vcc_lo, 0, v[3:4]
	v_cndmask_b32_e32 v11, 0, v11, vcc_lo
	v_cmp_neq_f64_e32 vcc_lo, 0, v[3:4]
	v_cndmask_b32_e32 v12, 0xfff00000, v12, vcc_lo
	v_add_f64 v[3:4], v[11:12], -v[15:16]
	v_div_scale_f64 v[11:12], null, s[50:51], s[50:51], v[3:4]
	v_div_scale_f64 v[27:28], vcc_lo, v[3:4], s[50:51], v[3:4]
	v_rcp_f64_e32 v[17:18], v[11:12]
	v_fma_f64 v[25:26], -v[11:12], v[17:18], 1.0
	v_fma_f64 v[17:18], v[17:18], v[25:26], v[17:18]
	v_fma_f64 v[25:26], -v[11:12], v[17:18], 1.0
	v_fma_f64 v[17:18], v[17:18], v[25:26], v[17:18]
	v_mul_f64 v[25:26], v[27:28], v[17:18]
	v_fma_f64 v[11:12], -v[11:12], v[25:26], v[27:28]
	v_div_fmas_f64 v[11:12], v[11:12], v[17:18], v[25:26]
	v_div_fixup_f64 v[3:4], v[11:12], s[50:51], v[3:4]
	v_cvt_i32_f64_e32 v3, v[3:4]
	v_mov_b32_e32 v4, v24
	v_readfirstlane_b32 s7, v3
	s_and_saveexec_b32 s9, s0
	s_cbranch_execz .LBB7_28
; %bb.18:                               ;   in Loop: Header=BB7_4 Depth=1
	v_add_f64 v[11:12], v[9:10], -v[5:6]
	s_add_u32 s30, s74, s4
	s_addc_u32 s31, s75, s5
	s_cmp_gt_i32 s26, 1
	ds_write_b8 v22, v22 offset:6661
	s_cselect_b32 s27, -1, 0
	s_cmp_lt_i32 s26, 2
	v_cmp_ge_f64_e32 vcc_lo, s[18:19], v[11:12]
	v_cndmask_b32_e64 v3, 0, 1, vcc_lo
	s_cbranch_scc1 .LBB7_21
; %bb.19:                               ;   in Loop: Header=BB7_4 Depth=1
	v_cmp_gt_f64_e64 s36, v[11:12], -s[18:19]
	s_xor_b32 s3, s19, 0x80000000
	s_not_b32 s37, s8
	s_mov_b64 s[54:55], s[30:31]
	s_add_i32 s49, s37, s82
	s_and_b32 s36, vcc_lo, s36
	v_cndmask_b32_e64 v12, v12, s3, s36
	v_cndmask_b32_e64 v11, v11, s18, s36
	s_add_u32 s36, s56, s4
	s_addc_u32 s37, s57, s5
	s_inst_prefetch 0x1
	.p2align	6
.LBB7_20:                               ;   Parent Loop BB7_4 Depth=1
                                        ; =>  This Inner Loop Header: Depth=2
	s_clause 0x1
	global_load_dwordx2 v[17:18], v22, s[54:55]
	global_load_dwordx2 v[25:26], v22, s[36:37]
	s_add_i32 s49, s49, -1
	s_waitcnt vmcnt(1)
	v_div_scale_f64 v[27:28], null, v[11:12], v[11:12], v[17:18]
	v_div_scale_f64 v[33:34], vcc_lo, v[17:18], v[11:12], v[17:18]
	s_waitcnt vmcnt(0)
	v_add_f64 v[25:26], v[25:26], -v[5:6]
	v_rcp_f64_e32 v[29:30], v[27:28]
	v_fma_f64 v[31:32], -v[27:28], v[29:30], 1.0
	v_fma_f64 v[29:30], v[29:30], v[31:32], v[29:30]
	v_fma_f64 v[31:32], -v[27:28], v[29:30], 1.0
	v_fma_f64 v[29:30], v[29:30], v[31:32], v[29:30]
	v_mul_f64 v[31:32], v[33:34], v[29:30]
	v_fma_f64 v[27:28], -v[27:28], v[31:32], v[33:34]
	v_div_fmas_f64 v[27:28], v[27:28], v[29:30], v[31:32]
	v_div_fixup_f64 v[11:12], v[27:28], v[11:12], v[17:18]
	v_add_f64 v[11:12], v[25:26], -v[11:12]
	v_cmp_ge_f64_e32 vcc_lo, s[18:19], v[11:12]
	v_cmp_gt_f64_e64 s83, v[11:12], -s[18:19]
	v_add_co_ci_u32_e64 v3, null, 0, v3, vcc_lo
	s_and_b32 s83, vcc_lo, s83
	s_add_u32 s36, s36, 8
	v_cndmask_b32_e64 v12, v12, s3, s83
	v_cndmask_b32_e64 v11, v11, s18, s83
	s_addc_u32 s37, s37, 0
	s_add_u32 s54, s54, 8
	s_addc_u32 s55, s55, 0
	s_cmp_lg_u32 s49, 0
	s_cbranch_scc1 .LBB7_20
.LBB7_21:                               ;   in Loop: Header=BB7_4 Depth=1
	s_inst_prefetch 0x2
	v_add_f64 v[9:10], v[9:10], -v[7:8]
	s_andn2_b32 vcc_lo, exec_lo, s27
	v_cmp_ge_f64_e64 s3, s[18:19], v[9:10]
	v_cndmask_b32_e64 v4, 0, 1, s3
	s_cbranch_vccnz .LBB7_24
; %bb.22:                               ;   in Loop: Header=BB7_4 Depth=1
	v_cmp_gt_f64_e64 s36, v[9:10], -s[18:19]
	s_xor_b32 s27, s19, 0x80000000
	s_and_b32 s3, s3, s36
	s_not_b32 s36, s8
	v_cndmask_b32_e64 v10, v10, s27, s3
	v_cndmask_b32_e64 v9, v9, s18, s3
	s_add_i32 s3, s36, s82
	s_add_u32 s36, s56, s4
	s_addc_u32 s37, s57, s5
	s_inst_prefetch 0x1
	.p2align	6
.LBB7_23:                               ;   Parent Loop BB7_4 Depth=1
                                        ; =>  This Inner Loop Header: Depth=2
	s_clause 0x1
	global_load_dwordx2 v[11:12], v22, s[30:31]
	global_load_dwordx2 v[17:18], v22, s[36:37]
	s_add_i32 s3, s3, -1
	s_waitcnt vmcnt(1)
	v_div_scale_f64 v[25:26], null, v[9:10], v[9:10], v[11:12]
	v_div_scale_f64 v[31:32], vcc_lo, v[11:12], v[9:10], v[11:12]
	s_waitcnt vmcnt(0)
	v_add_f64 v[17:18], v[17:18], -v[7:8]
	v_rcp_f64_e32 v[27:28], v[25:26]
	v_fma_f64 v[29:30], -v[25:26], v[27:28], 1.0
	v_fma_f64 v[27:28], v[27:28], v[29:30], v[27:28]
	v_fma_f64 v[29:30], -v[25:26], v[27:28], 1.0
	v_fma_f64 v[27:28], v[27:28], v[29:30], v[27:28]
	v_mul_f64 v[29:30], v[31:32], v[27:28]
	v_fma_f64 v[25:26], -v[25:26], v[29:30], v[31:32]
	v_div_fmas_f64 v[25:26], v[25:26], v[27:28], v[29:30]
	v_div_fixup_f64 v[9:10], v[25:26], v[9:10], v[11:12]
	v_add_f64 v[9:10], v[17:18], -v[9:10]
	v_cmp_ge_f64_e32 vcc_lo, s[18:19], v[9:10]
	v_cmp_gt_f64_e64 s49, v[9:10], -s[18:19]
	v_add_co_ci_u32_e64 v4, null, 0, v4, vcc_lo
	s_and_b32 s49, vcc_lo, s49
	s_add_u32 s36, s36, 8
	v_cndmask_b32_e64 v10, v10, s27, s49
	v_cndmask_b32_e64 v9, v9, s18, s49
	s_addc_u32 s37, s37, 0
	s_add_u32 s30, s30, 8
	s_addc_u32 s31, s31, 0
	s_cmp_lg_u32 s3, 0
	s_cbranch_scc1 .LBB7_23
.LBB7_24:                               ;   in Loop: Header=BB7_4 Depth=1
	s_inst_prefetch 0x2
	v_sub_nc_u32_e32 v9, v4, v3
	s_mov_b32 s3, -1
	v_cmp_gt_i32_e32 vcc_lo, 1, v9
	s_cbranch_vccz .LBB7_26
; %bb.25:                               ;   in Loop: Header=BB7_4 Depth=1
	s_add_u32 s30, s80, s10
	s_addc_u32 s31, s81, s11
	ds_write_b8 v22, v22 offset:6660
	s_mov_b32 s3, 0
	global_store_dword v22, v22, s[30:31]
.LBB7_26:                               ;   in Loop: Header=BB7_4 Depth=1
	s_andn2_b32 vcc_lo, exec_lo, s3
	s_cbranch_vccnz .LBB7_28
; %bb.27:                               ;   in Loop: Header=BB7_4 Depth=1
	s_add_i32 s3, s8, s35
	ds_write_b8 v22, v23 offset:6660
	s_lshl_b32 s30, s3, 1
	s_ashr_i32 s31, s30, 31
	s_lshl_b64 s[36:37], s[30:31], 3
	s_add_u32 s36, s76, s36
	s_addc_u32 s37, s77, s37
	s_add_u32 s54, s80, s10
	s_addc_u32 s55, s81, s11
	s_lshl_b64 s[30:31], s[30:31], 2
	global_store_dwordx4 v22, v[5:8], s[36:37]
	s_add_u32 s30, s78, s30
	s_addc_u32 s31, s79, s31
	global_store_dword v22, v9, s[54:55]
	global_store_dwordx2 v22, v[3:4], s[30:31]
.LBB7_28:                               ;   in Loop: Header=BB7_4 Depth=1
	s_or_b32 exec_lo, exec_lo, s9
	s_add_i32 s7, s7, 2
	s_mov_b32 s9, 0
	s_mov_b32 s49, 1
.LBB7_29:                               ;   in Loop: Header=BB7_4 Depth=1
	s_waitcnt lgkmcnt(0)
	s_waitcnt_vscnt null, 0x0
	s_barrier
	buffer_gl0_inv
	ds_read_u16 v3, v22 offset:6660
	s_waitcnt lgkmcnt(0)
	v_readfirstlane_b32 s3, v3
	s_bitcmp1_b32 s3, 0
	s_cselect_b32 s36, -1, 0
	s_bitcmp1_b32 s3, 8
	s_cselect_b32 s3, -1, 0
	s_xor_b32 s27, s3, -1
	s_and_b32 s27, s36, s27
	s_cmp_lt_i32 s9, s7
	s_cselect_b32 s30, -1, 0
	s_and_b32 s27, s27, s30
	s_andn2_b32 vcc_lo, exec_lo, s27
	s_cbranch_vccnz .LBB7_64
; %bb.30:                               ;   in Loop: Header=BB7_4 Depth=1
	v_cndmask_b32_e64 v2, s25, v2, s2
	v_cndmask_b32_e64 v1, s24, v1, s2
	s_add_i32 s3, s8, s35
	s_lshl_b32 s55, s8, 1
	s_lshl_b32 s83, s3, 1
	s_add_u32 s30, s74, s4
	v_cmp_gt_f64_e32 vcc_lo, s[18:19], v[1:2]
	s_addc_u32 s31, s75, s5
	s_cmp_gt_i32 s26, 1
	s_cselect_b32 s84, -1, 0
	s_not_b32 s3, s8
	s_add_i32 s82, s3, s82
	s_add_u32 s26, s56, s4
	s_addc_u32 s27, s57, s5
	v_cndmask_b32_e64 v18, v2, s19, vcc_lo
	v_cndmask_b32_e64 v17, v1, s18, vcc_lo
	s_branch .LBB7_32
.LBB7_31:                               ;   in Loop: Header=BB7_32 Depth=2
	s_or_b32 exec_lo, exec_lo, s3
	s_waitcnt lgkmcnt(0)
	s_barrier
	buffer_gl0_inv
	ds_read_u16 v1, v22 offset:6660
	s_add_i32 s9, s9, 1
	s_waitcnt lgkmcnt(0)
	v_readfirstlane_b32 s3, v1
	s_bitcmp1_b32 s3, 0
	s_cselect_b32 s36, -1, 0
	s_bitcmp1_b32 s3, 8
	s_cselect_b32 s3, -1, 0
	s_xor_b32 s4, s3, -1
	s_and_b32 s4, s36, s4
	s_cmp_lt_i32 s9, s7
	s_cselect_b32 s5, -1, 0
	s_and_b32 s4, s4, s5
	s_and_b32 vcc_lo, exec_lo, s4
	s_cbranch_vccz .LBB7_65
.LBB7_32:                               ;   Parent Loop BB7_4 Depth=1
                                        ; =>  This Loop Header: Depth=2
                                        ;       Child Loop BB7_37 Depth 3
                                        ;         Child Loop BB7_40 Depth 4
                                        ;         Child Loop BB7_53 Depth 4
	s_and_saveexec_b32 s3, s0
; %bb.33:                               ;   in Loop: Header=BB7_32 Depth=2
	ds_write_b32 v22, v22 offset:6656
; %bb.34:                               ;   in Loop: Header=BB7_32 Depth=2
	s_or_b32 exec_lo, exec_lo, s3
	s_bitcmp0_b32 s9, 0
	s_cselect_b32 s3, -1, 0
	s_and_b32 s4, s3, exec_lo
	s_cselect_b32 s54, s55, s83
	s_cmp_lt_i32 s49, 1
	s_cbranch_scc1 .LBB7_60
; %bb.35:                               ;   in Loop: Header=BB7_32 Depth=2
	s_and_b32 s3, s3, exec_lo
	s_cselect_b32 s85, s83, s55
	s_mov_b32 s86, 0
	s_branch .LBB7_37
.LBB7_36:                               ;   in Loop: Header=BB7_37 Depth=3
	s_or_b32 exec_lo, exec_lo, s4
	s_addk_i32 s86, 0x80
	s_waitcnt lgkmcnt(0)
	s_cmp_ge_i32 s86, s49
	s_barrier
	buffer_gl0_inv
	s_cbranch_scc1 .LBB7_60
.LBB7_37:                               ;   Parent Loop BB7_4 Depth=1
                                        ;     Parent Loop BB7_32 Depth=2
                                        ; =>    This Loop Header: Depth=3
                                        ;         Child Loop BB7_40 Depth 4
                                        ;         Child Loop BB7_53 Depth 4
	v_add_nc_u32_e32 v1, s86, v0
	v_cmp_gt_i32_e64 s3, s49, v1
	s_and_saveexec_b32 s87, s3
	s_cbranch_execz .LBB7_50
; %bb.38:                               ;   in Loop: Header=BB7_37 Depth=3
	v_lshl_add_u32 v1, v1, 1, s85
	v_ashrrev_i32_e32 v2, 31, v1
	v_lshlrev_b64 v[3:4], 3, v[1:2]
	v_lshlrev_b64 v[1:2], 2, v[1:2]
	v_add_co_u32 v3, vcc_lo, s76, v3
	v_add_co_ci_u32_e64 v4, null, s77, v4, vcc_lo
	v_add_co_u32 v1, vcc_lo, s78, v1
	v_add_co_ci_u32_e64 v2, null, s79, v2, vcc_lo
	global_load_dwordx4 v[5:8], v[3:4], off
	global_load_dwordx2 v[9:10], v22, s[22:23]
	s_andn2_b32 vcc_lo, exec_lo, s84
	global_load_dwordx2 v[3:4], v[1:2], off
	s_waitcnt vmcnt(2)
	v_add_f64 v[11:12], v[5:6], v[7:8]
	s_waitcnt vmcnt(1)
	v_fma_f64 v[1:2], v[11:12], -0.5, v[9:10]
	v_mul_f64 v[9:10], v[11:12], 0.5
	v_cmp_ge_f64_e64 s4, s[18:19], v[1:2]
	v_cndmask_b32_e64 v11, 0, 1, s4
	s_cbranch_vccnz .LBB7_41
; %bb.39:                               ;   in Loop: Header=BB7_37 Depth=3
	v_cmp_gt_f64_e64 s5, v[1:2], -s[18:19]
	s_xor_b32 s88, s19, 0x80000000
	s_mov_b64 s[36:37], s[26:27]
	s_mov_b32 s89, s82
	s_and_b32 s4, s4, s5
	v_cndmask_b32_e64 v2, v2, s88, s4
	v_cndmask_b32_e64 v1, v1, s18, s4
	s_mov_b64 s[4:5], s[30:31]
	s_inst_prefetch 0x1
	.p2align	6
.LBB7_40:                               ;   Parent Loop BB7_4 Depth=1
                                        ;     Parent Loop BB7_32 Depth=2
                                        ;       Parent Loop BB7_37 Depth=3
                                        ; =>      This Inner Loop Header: Depth=4
	s_clause 0x1
	global_load_dwordx2 v[25:26], v22, s[4:5]
	global_load_dwordx2 v[27:28], v22, s[36:37]
	s_add_i32 s89, s89, -1
	s_waitcnt vmcnt(1)
	v_div_scale_f64 v[29:30], null, v[1:2], v[1:2], v[25:26]
	v_div_scale_f64 v[35:36], vcc_lo, v[25:26], v[1:2], v[25:26]
	s_waitcnt vmcnt(0)
	v_add_f64 v[27:28], v[27:28], -v[9:10]
	v_rcp_f64_e32 v[31:32], v[29:30]
	v_fma_f64 v[33:34], -v[29:30], v[31:32], 1.0
	v_fma_f64 v[31:32], v[31:32], v[33:34], v[31:32]
	v_fma_f64 v[33:34], -v[29:30], v[31:32], 1.0
	v_fma_f64 v[31:32], v[31:32], v[33:34], v[31:32]
	v_mul_f64 v[33:34], v[35:36], v[31:32]
	v_fma_f64 v[29:30], -v[29:30], v[33:34], v[35:36]
	v_div_fmas_f64 v[29:30], v[29:30], v[31:32], v[33:34]
	v_div_fixup_f64 v[1:2], v[29:30], v[1:2], v[25:26]
	v_add_f64 v[1:2], v[27:28], -v[1:2]
	v_cmp_ge_f64_e32 vcc_lo, s[18:19], v[1:2]
	v_cmp_gt_f64_e64 s90, v[1:2], -s[18:19]
	v_add_co_ci_u32_e64 v11, null, 0, v11, vcc_lo
	s_and_b32 s90, vcc_lo, s90
	s_add_u32 s36, s36, 8
	v_cndmask_b32_e64 v2, v2, s88, s90
	v_cndmask_b32_e64 v1, v1, s18, s90
	s_addc_u32 s37, s37, 0
	s_add_u32 s4, s4, 8
	s_addc_u32 s5, s5, 0
	s_cmp_lg_u32 s89, 0
	s_cbranch_scc1 .LBB7_40
.LBB7_41:                               ;   in Loop: Header=BB7_37 Depth=3
	s_inst_prefetch 0x2
	s_waitcnt vmcnt(0)
	v_max_i32_e32 v1, v11, v3
	s_mov_b32 s4, exec_lo
	v_min_i32_e32 v2, v1, v4
	v_cmpx_ne_u32_e64 v2, v3
	s_xor_b32 s4, exec_lo, s4
	s_cbranch_execz .LBB7_47
; %bb.42:                               ;   in Loop: Header=BB7_37 Depth=3
	s_mov_b32 s5, exec_lo
	v_cmpx_le_i32_e64 v4, v1
	s_xor_b32 s5, exec_lo, s5
	s_cbranch_execz .LBB7_44
; %bb.43:                               ;   in Loop: Header=BB7_37 Depth=3
	v_mov_b32_e32 v7, v9
	v_mov_b32_e32 v8, v10
	;; [unrolled: 1-line block ×3, first 2 shown]
                                        ; implicit-def: $vgpr9_vgpr10
	ds_write_b32 v19, v22
	ds_write_b128 v20, v[5:8]
	ds_write_b64 v21, v[1:2]
                                        ; implicit-def: $vgpr5_vgpr6
.LBB7_44:                               ;   in Loop: Header=BB7_37 Depth=3
	s_andn2_saveexec_b32 s5, s5
	s_cbranch_execz .LBB7_46
; %bb.45:                               ;   in Loop: Header=BB7_37 Depth=3
	v_mov_b32_e32 v25, v5
	v_mov_b32_e32 v26, v6
	;; [unrolled: 1-line block ×8, first 2 shown]
	ds_write_b32 v19, v23
	ds_write_b128 v20, v[25:28]
	ds_write_b128 v20, v[9:12] offset:16
	ds_write_b128 v21, v[1:4]
.LBB7_46:                               ;   in Loop: Header=BB7_37 Depth=3
	s_or_b32 exec_lo, exec_lo, s5
                                        ; implicit-def: $vgpr9_vgpr10
                                        ; implicit-def: $vgpr7_vgpr8
.LBB7_47:                               ;   in Loop: Header=BB7_37 Depth=3
	s_andn2_saveexec_b32 s4, s4
	s_cbranch_execz .LBB7_49
; %bb.48:                               ;   in Loop: Header=BB7_37 Depth=3
	v_mov_b32_e32 v11, v7
	v_mov_b32_e32 v12, v8
	ds_write_b32 v19, v22
	ds_write_b128 v20, v[9:12]
	ds_write_b64 v21, v[3:4]
.LBB7_49:                               ;   in Loop: Header=BB7_37 Depth=3
	s_or_b32 exec_lo, exec_lo, s4
.LBB7_50:                               ;   in Loop: Header=BB7_37 Depth=3
	s_or_b32 exec_lo, exec_lo, s87
	s_waitcnt lgkmcnt(0)
	s_barrier
	buffer_gl0_inv
	s_and_saveexec_b32 s4, s3
	s_cbranch_execz .LBB7_58
; %bb.51:                               ;   in Loop: Header=BB7_37 Depth=3
	v_mov_b32_e32 v4, 0
	s_and_saveexec_b32 s3, s1
	s_cbranch_execz .LBB7_55
; %bb.52:                               ;   in Loop: Header=BB7_37 Depth=3
	v_mov_b32_e32 v4, 0
	v_mov_b32_e32 v1, v0
	s_movk_i32 s36, 0x1800
	s_mov_b32 s5, 0
.LBB7_53:                               ;   Parent Loop BB7_4 Depth=1
                                        ;     Parent Loop BB7_32 Depth=2
                                        ;       Parent Loop BB7_37 Depth=3
                                        ; =>      This Inner Loop Header: Depth=4
	v_mov_b32_e32 v2, s36
	v_add_nc_u32_e32 v1, -1, v1
	s_add_i32 s36, s36, 4
	ds_read_b32 v2, v2
	v_cmp_eq_u32_e32 vcc_lo, 0, v1
	s_or_b32 s5, vcc_lo, s5
	s_waitcnt lgkmcnt(0)
	v_add_nc_u32_e32 v4, v2, v4
	s_andn2_b32 exec_lo, exec_lo, s5
	s_cbranch_execnz .LBB7_53
; %bb.54:                               ;   in Loop: Header=BB7_37 Depth=3
	s_or_b32 exec_lo, exec_lo, s5
.LBB7_55:                               ;   in Loop: Header=BB7_37 Depth=3
	s_or_b32 exec_lo, exec_lo, s3
	ds_read_b32 v1, v22 offset:6656
	ds_read_b64 v[11:12], v21
	ds_read_b32 v3, v19
	ds_read_b128 v[7:10], v20
	s_mov_b32 s3, exec_lo
	s_waitcnt lgkmcnt(3)
	v_add3_u32 v1, v4, v0, v1
	v_lshl_add_u32 v1, v1, 1, s54
	v_ashrrev_i32_e32 v2, 31, v1
	v_lshlrev_b64 v[5:6], 3, v[1:2]
	v_lshlrev_b64 v[25:26], 2, v[1:2]
	v_add_co_u32 v1, vcc_lo, s76, v5
	v_add_co_ci_u32_e64 v2, null, s77, v6, vcc_lo
	v_add_co_u32 v5, vcc_lo, s78, v25
	v_add_co_ci_u32_e64 v6, null, s79, v26, vcc_lo
	s_waitcnt lgkmcnt(0)
	global_store_dwordx4 v[1:2], v[7:10], off
	global_store_dwordx2 v[5:6], v[11:12], off
	v_cmpx_ne_u32_e32 0, v3
	s_cbranch_execz .LBB7_57
; %bb.56:                               ;   in Loop: Header=BB7_37 Depth=3
	ds_read_b128 v[7:10], v20 offset:16
	ds_read_b64 v[11:12], v21 offset:8
	s_waitcnt lgkmcnt(1)
	global_store_dwordx4 v[1:2], v[7:10], off offset:16
	s_waitcnt lgkmcnt(0)
	global_store_dwordx2 v[5:6], v[11:12], off offset:8
.LBB7_57:                               ;   in Loop: Header=BB7_37 Depth=3
	s_or_b32 exec_lo, exec_lo, s3
.LBB7_58:                               ;   in Loop: Header=BB7_37 Depth=3
	s_or_b32 exec_lo, exec_lo, s4
	s_sub_i32 s3, s49, s86
	s_waitcnt_vscnt null, 0x0
	s_min_i32 s3, s3, 0x80
	s_barrier
	s_add_i32 s4, s3, -1
	buffer_gl0_inv
	v_cmp_eq_u32_e32 vcc_lo, s4, v0
	s_and_saveexec_b32 s4, vcc_lo
	s_cbranch_execz .LBB7_36
; %bb.59:                               ;   in Loop: Header=BB7_37 Depth=3
	ds_read_b32 v1, v19
	ds_read_b32 v2, v22 offset:6656
	v_add_nc_u32_e32 v3, s3, v4
	s_waitcnt lgkmcnt(0)
	v_add3_u32 v1, v3, v1, v2
	ds_write_b32 v22, v1 offset:6656
	s_branch .LBB7_36
.LBB7_60:                               ;   in Loop: Header=BB7_32 Depth=2
	ds_read_b32 v1, v22 offset:6656
	s_waitcnt lgkmcnt(0)
	v_readfirstlane_b32 s49, v1
	s_and_saveexec_b32 s3, s0
	s_cbranch_execz .LBB7_31
; %bb.61:                               ;   in Loop: Header=BB7_32 Depth=2
	ds_read_b128 v[5:8], v22
	s_waitcnt lgkmcnt(0)
	v_cmp_lt_f64_e64 vcc_lo, |v[5:6]|, |v[7:8]|
	v_cndmask_b32_e32 v2, v6, v8, vcc_lo
	v_cndmask_b32_e32 v1, v5, v7, vcc_lo
	v_add_f64 v[5:6], v[7:8], -v[5:6]
	v_mul_f64 v[1:2], v[13:14], |v[1:2]|
	v_cmp_lt_f64_e32 vcc_lo, v[17:18], v[1:2]
	v_cndmask_b32_e32 v2, v18, v2, vcc_lo
	v_cndmask_b32_e32 v1, v17, v1, vcc_lo
	v_cmp_nlt_f64_e32 vcc_lo, v[5:6], v[1:2]
	s_cbranch_vccnz .LBB7_31
; %bb.62:                               ;   in Loop: Header=BB7_32 Depth=2
	ds_write_b8 v22, v23 offset:6661
	s_branch .LBB7_31
.LBB7_63:                               ;   in Loop: Header=BB7_4 Depth=1
                                        ; implicit-def: $sgpr9
                                        ; implicit-def: $sgpr54
                                        ; implicit-def: $sgpr7
                                        ; implicit-def: $sgpr49
                                        ; implicit-def: $vgpr4
	s_cbranch_execz .LBB7_3
	s_branch .LBB7_77
.LBB7_64:                               ;   in Loop: Header=BB7_4 Depth=1
	s_mov_b32 s54, s61
.LBB7_65:                               ;   in Loop: Header=BB7_4 Depth=1
	s_and_b32 s4, s0, s36
	s_and_saveexec_b32 s26, s4
	s_cbranch_execz .LBB7_76
; %bb.66:                               ;   in Loop: Header=BB7_4 Depth=1
	s_cmp_lt_i32 s49, 1
	s_cbranch_scc1 .LBB7_74
; %bb.67:                               ;   in Loop: Header=BB7_4 Depth=1
	s_add_i32 s4, s6, 1
	s_not_b32 s5, s6
	s_and_b32 s22, s3, exec_lo
	s_cselect_b32 s27, s4, s5
	s_mov_b32 s30, 0
	s_mov_b32 s31, 0
	s_inst_prefetch 0x1
	s_branch .LBB7_69
	.p2align	6
.LBB7_68:                               ;   in Loop: Header=BB7_69 Depth=2
	s_add_i32 s30, s30, 1
	s_cmp_eq_u32 s30, s49
	s_cbranch_scc1 .LBB7_73
.LBB7_69:                               ;   Parent Loop BB7_4 Depth=1
                                        ; =>  This Loop Header: Depth=2
                                        ;       Child Loop BB7_71 Depth 3
	s_lshl_b32 s4, s30, 1
	s_add_i32 s4, s4, s54
	s_ashr_i32 s5, s4, 31
	s_lshl_b64 s[22:23], s[4:5], 2
	s_add_u32 s22, s78, s22
	s_addc_u32 s23, s79, s23
	global_load_dwordx2 v[1:2], v22, s[22:23]
	s_waitcnt vmcnt(0)
	v_readfirstlane_b32 s22, v1
	v_readfirstlane_b32 s36, v2
	s_sub_i32 s37, s36, s22
	s_cmp_lt_i32 s37, 1
	s_cbranch_scc1 .LBB7_68
; %bb.70:                               ;   in Loop: Header=BB7_69 Depth=2
	s_lshl_b64 s[4:5], s[4:5], 3
	s_mov_b32 s55, 0
	s_add_u32 s4, s76, s4
	s_addc_u32 s5, s77, s5
	s_add_i32 s22, s8, s31
	global_load_dwordx4 v[1:4], v22, s[4:5]
	s_ashr_i32 s23, s22, 31
	s_lshl_b64 s[4:5], s[22:23], 3
	s_add_u32 s4, s68, s4
	s_addc_u32 s5, s69, s5
	s_lshl_b64 s[22:23], s[22:23], 2
	s_add_u32 s22, s70, s22
	s_addc_u32 s23, s71, s23
	s_waitcnt vmcnt(0)
	v_add_f64 v[1:2], v[1:2], v[3:4]
	v_mul_f64 v[1:2], v[1:2], 0.5
.LBB7_71:                               ;   Parent Loop BB7_4 Depth=1
                                        ;     Parent Loop BB7_69 Depth=2
                                        ; =>    This Inner Loop Header: Depth=3
	v_mov_b32_e32 v3, s27
	s_add_i32 s55, s55, 1
	global_store_dwordx2 v22, v[1:2], s[4:5]
	s_add_u32 s4, s4, 8
	s_addc_u32 s5, s5, 0
	global_store_dword v22, v3, s[22:23]
	s_add_u32 s22, s22, 4
	s_addc_u32 s23, s23, 0
	s_cmp_ge_i32 s55, s37
	s_cbranch_scc0 .LBB7_71
; %bb.72:                               ;   in Loop: Header=BB7_69 Depth=2
	s_add_i32 s31, s31, s55
	s_branch .LBB7_68
.LBB7_73:                               ;   in Loop: Header=BB7_4 Depth=1
	s_inst_prefetch 0x2
	v_mov_b32_e32 v4, s36
.LBB7_74:                               ;   in Loop: Header=BB7_4 Depth=1
	s_xor_b32 s3, s3, -1
	s_and_b32 vcc_lo, exec_lo, s3
	s_cbranch_vccz .LBB7_76
; %bb.75:                               ;   in Loop: Header=BB7_4 Depth=1
	global_store_dword v22, v23, s[14:15]
.LBB7_76:                               ;   in Loop: Header=BB7_4 Depth=1
	s_or_b32 exec_lo, exec_lo, s26
	s_branch .LBB7_3
.LBB7_77:                               ;   in Loop: Header=BB7_4 Depth=1
	s_and_saveexec_b32 s3, s0
	s_cbranch_execz .LBB7_2
; %bb.78:                               ;   in Loop: Header=BB7_4 Depth=1
	s_ashr_i32 s9, s8, 31
	s_mov_b32 s7, -1
	s_lshl_b64 s[4:5], s[8:9], 3
	s_add_u32 s22, s64, s4
	s_addc_u32 s23, s65, s5
	s_andn2_b32 vcc_lo, exec_lo, s34
	global_load_dwordx2 v[1:2], v22, s[22:23]
	s_cbranch_vccnz .LBB7_83
; %bb.79:                               ;   in Loop: Header=BB7_4 Depth=1
	global_load_dwordx2 v[5:6], v22, s[16:17]
	s_waitcnt vmcnt(1)
	v_add_f64 v[3:4], v[1:2], -s[18:19]
	s_mov_b32 s7, 0
	s_waitcnt vmcnt(0)
	v_cmp_lt_f64_e32 vcc_lo, v[5:6], v[3:4]
	v_cmp_nlt_f64_e64 s22, v[5:6], v[3:4]
	s_cbranch_vccz .LBB7_81
; %bb.80:                               ;   in Loop: Header=BB7_4 Depth=1
	global_load_dwordx2 v[5:6], v22, s[16:17] offset:8
	s_mov_b32 s7, -1
	s_waitcnt vmcnt(0)
	v_cmp_nge_f64_e64 s22, v[5:6], v[3:4]
.LBB7_81:                               ;   in Loop: Header=BB7_4 Depth=1
	s_andn2_b32 vcc_lo, exec_lo, s22
	s_cbranch_vccnz .LBB7_83
; %bb.82:                               ;   in Loop: Header=BB7_4 Depth=1
	s_add_u32 s22, s80, s10
	s_addc_u32 s23, s81, s11
	s_mov_b32 s7, 0
	global_store_dword v22, v22, s[22:23]
.LBB7_83:                               ;   in Loop: Header=BB7_4 Depth=1
	s_and_b32 vcc_lo, exec_lo, s7
	s_cbranch_vccz .LBB7_2
; %bb.84:                               ;   in Loop: Header=BB7_4 Depth=1
	s_add_u32 s4, s68, s4
	s_addc_u32 s5, s69, s5
	s_add_u32 s10, s80, s10
	s_addc_u32 s11, s81, s11
	s_add_i32 s7, s6, 1
	s_lshl_b64 s[8:9], s[8:9], 2
	v_mov_b32_e32 v3, s7
	s_waitcnt vmcnt(0)
	global_store_dwordx2 v22, v[1:2], s[4:5]
	s_add_u32 s4, s70, s8
	s_addc_u32 s5, s71, s9
	global_store_dword v22, v23, s[10:11]
	global_store_dword v22, v3, s[4:5]
	s_branch .LBB7_2
.LBB7_85:
	s_endpgm
	.section	.rodata,"a",@progbits
	.p2align	6, 0x0
	.amdhsa_kernel _ZN9rocsolver6v33100L22stebz_bisection_kernelIdPdEEv15rocblas_erange_iT_T0_iiS5_iiPiPS4_lS6_lS6_lS6_S6_S7_S7_S7_S7_S6_S4_S4_
		.amdhsa_group_segment_fixed_size 6664
		.amdhsa_private_segment_fixed_size 0
		.amdhsa_kernarg_size 176
		.amdhsa_user_sgpr_count 6
		.amdhsa_user_sgpr_private_segment_buffer 1
		.amdhsa_user_sgpr_dispatch_ptr 0
		.amdhsa_user_sgpr_queue_ptr 0
		.amdhsa_user_sgpr_kernarg_segment_ptr 1
		.amdhsa_user_sgpr_dispatch_id 0
		.amdhsa_user_sgpr_flat_scratch_init 0
		.amdhsa_user_sgpr_private_segment_size 0
		.amdhsa_wavefront_size32 1
		.amdhsa_uses_dynamic_stack 0
		.amdhsa_system_sgpr_private_segment_wavefront_offset 0
		.amdhsa_system_sgpr_workgroup_id_x 1
		.amdhsa_system_sgpr_workgroup_id_y 1
		.amdhsa_system_sgpr_workgroup_id_z 0
		.amdhsa_system_sgpr_workgroup_info 0
		.amdhsa_system_vgpr_workitem_id 0
		.amdhsa_next_free_vgpr 39
		.amdhsa_next_free_sgpr 91
		.amdhsa_reserve_vcc 1
		.amdhsa_reserve_flat_scratch 0
		.amdhsa_float_round_mode_32 0
		.amdhsa_float_round_mode_16_64 0
		.amdhsa_float_denorm_mode_32 3
		.amdhsa_float_denorm_mode_16_64 3
		.amdhsa_dx10_clamp 1
		.amdhsa_ieee_mode 1
		.amdhsa_fp16_overflow 0
		.amdhsa_workgroup_processor_mode 1
		.amdhsa_memory_ordered 1
		.amdhsa_forward_progress 1
		.amdhsa_shared_vgpr_count 0
		.amdhsa_exception_fp_ieee_invalid_op 0
		.amdhsa_exception_fp_denorm_src 0
		.amdhsa_exception_fp_ieee_div_zero 0
		.amdhsa_exception_fp_ieee_overflow 0
		.amdhsa_exception_fp_ieee_underflow 0
		.amdhsa_exception_fp_ieee_inexact 0
		.amdhsa_exception_int_div_zero 0
	.end_amdhsa_kernel
	.section	.text._ZN9rocsolver6v33100L22stebz_bisection_kernelIdPdEEv15rocblas_erange_iT_T0_iiS5_iiPiPS4_lS6_lS6_lS6_S6_S7_S7_S7_S7_S6_S4_S4_,"axG",@progbits,_ZN9rocsolver6v33100L22stebz_bisection_kernelIdPdEEv15rocblas_erange_iT_T0_iiS5_iiPiPS4_lS6_lS6_lS6_S6_S7_S7_S7_S7_S6_S4_S4_,comdat
.Lfunc_end7:
	.size	_ZN9rocsolver6v33100L22stebz_bisection_kernelIdPdEEv15rocblas_erange_iT_T0_iiS5_iiPiPS4_lS6_lS6_lS6_S6_S7_S7_S7_S7_S6_S4_S4_, .Lfunc_end7-_ZN9rocsolver6v33100L22stebz_bisection_kernelIdPdEEv15rocblas_erange_iT_T0_iiS5_iiPiPS4_lS6_lS6_lS6_S6_S7_S7_S7_S7_S6_S4_S4_
                                        ; -- End function
	.set _ZN9rocsolver6v33100L22stebz_bisection_kernelIdPdEEv15rocblas_erange_iT_T0_iiS5_iiPiPS4_lS6_lS6_lS6_S6_S7_S7_S7_S7_S6_S4_S4_.num_vgpr, 39
	.set _ZN9rocsolver6v33100L22stebz_bisection_kernelIdPdEEv15rocblas_erange_iT_T0_iiS5_iiPiPS4_lS6_lS6_lS6_S6_S7_S7_S7_S7_S6_S4_S4_.num_agpr, 0
	.set _ZN9rocsolver6v33100L22stebz_bisection_kernelIdPdEEv15rocblas_erange_iT_T0_iiS5_iiPiPS4_lS6_lS6_lS6_S6_S7_S7_S7_S7_S6_S4_S4_.numbered_sgpr, 91
	.set _ZN9rocsolver6v33100L22stebz_bisection_kernelIdPdEEv15rocblas_erange_iT_T0_iiS5_iiPiPS4_lS6_lS6_lS6_S6_S7_S7_S7_S7_S6_S4_S4_.num_named_barrier, 0
	.set _ZN9rocsolver6v33100L22stebz_bisection_kernelIdPdEEv15rocblas_erange_iT_T0_iiS5_iiPiPS4_lS6_lS6_lS6_S6_S7_S7_S7_S7_S6_S4_S4_.private_seg_size, 0
	.set _ZN9rocsolver6v33100L22stebz_bisection_kernelIdPdEEv15rocblas_erange_iT_T0_iiS5_iiPiPS4_lS6_lS6_lS6_S6_S7_S7_S7_S7_S6_S4_S4_.uses_vcc, 1
	.set _ZN9rocsolver6v33100L22stebz_bisection_kernelIdPdEEv15rocblas_erange_iT_T0_iiS5_iiPiPS4_lS6_lS6_lS6_S6_S7_S7_S7_S7_S6_S4_S4_.uses_flat_scratch, 0
	.set _ZN9rocsolver6v33100L22stebz_bisection_kernelIdPdEEv15rocblas_erange_iT_T0_iiS5_iiPiPS4_lS6_lS6_lS6_S6_S7_S7_S7_S7_S6_S4_S4_.has_dyn_sized_stack, 0
	.set _ZN9rocsolver6v33100L22stebz_bisection_kernelIdPdEEv15rocblas_erange_iT_T0_iiS5_iiPiPS4_lS6_lS6_lS6_S6_S7_S7_S7_S7_S6_S4_S4_.has_recursion, 0
	.set _ZN9rocsolver6v33100L22stebz_bisection_kernelIdPdEEv15rocblas_erange_iT_T0_iiS5_iiPiPS4_lS6_lS6_lS6_S6_S7_S7_S7_S7_S6_S4_S4_.has_indirect_call, 0
	.section	.AMDGPU.csdata,"",@progbits
; Kernel info:
; codeLenInByte = 5576
; TotalNumSgprs: 93
; NumVgprs: 39
; ScratchSize: 0
; MemoryBound: 0
; FloatMode: 240
; IeeeMode: 1
; LDSByteSize: 6664 bytes/workgroup (compile time only)
; SGPRBlocks: 0
; VGPRBlocks: 4
; NumSGPRsForWavesPerEU: 93
; NumVGPRsForWavesPerEU: 39
; Occupancy: 16
; WaveLimiterHint : 1
; COMPUTE_PGM_RSRC2:SCRATCH_EN: 0
; COMPUTE_PGM_RSRC2:USER_SGPR: 6
; COMPUTE_PGM_RSRC2:TRAP_HANDLER: 0
; COMPUTE_PGM_RSRC2:TGID_X_EN: 1
; COMPUTE_PGM_RSRC2:TGID_Y_EN: 1
; COMPUTE_PGM_RSRC2:TGID_Z_EN: 0
; COMPUTE_PGM_RSRC2:TIDIG_COMP_CNT: 0
	.section	.text._ZN9rocsolver6v33100L22stebz_synthesis_kernelIdPdEEv15rocblas_erange_15rocblas_eorder_iiiT0_iiPiS6_PT_lS6_lS6_liS6_S8_S8_S8_S8_S6_S7_,"axG",@progbits,_ZN9rocsolver6v33100L22stebz_synthesis_kernelIdPdEEv15rocblas_erange_15rocblas_eorder_iiiT0_iiPiS6_PT_lS6_lS6_liS6_S8_S8_S8_S8_S6_S7_,comdat
	.globl	_ZN9rocsolver6v33100L22stebz_synthesis_kernelIdPdEEv15rocblas_erange_15rocblas_eorder_iiiT0_iiPiS6_PT_lS6_lS6_liS6_S8_S8_S8_S8_S6_S7_ ; -- Begin function _ZN9rocsolver6v33100L22stebz_synthesis_kernelIdPdEEv15rocblas_erange_15rocblas_eorder_iiiT0_iiPiS6_PT_lS6_lS6_liS6_S8_S8_S8_S8_S6_S7_
	.p2align	8
	.type	_ZN9rocsolver6v33100L22stebz_synthesis_kernelIdPdEEv15rocblas_erange_15rocblas_eorder_iiiT0_iiPiS6_PT_lS6_lS6_liS6_S8_S8_S8_S8_S6_S7_,@function
_ZN9rocsolver6v33100L22stebz_synthesis_kernelIdPdEEv15rocblas_erange_15rocblas_eorder_iiiT0_iiPiS6_PT_lS6_lS6_liS6_S8_S8_S8_S8_S6_S7_: ; @_ZN9rocsolver6v33100L22stebz_synthesis_kernelIdPdEEv15rocblas_erange_15rocblas_eorder_iiiT0_iiPiS6_PT_lS6_lS6_liS6_S8_S8_S8_S8_S6_S7_
; %bb.0:
	s_clause 0x1
	s_load_dword s0, s[4:5], 0xb4
	s_load_dword s1, s[4:5], 0x68
	s_waitcnt lgkmcnt(0)
	s_and_b32 s0, s0, 0xffff
	v_mad_u64_u32 v[4:5], null, s6, s0, v[0:1]
	s_mov_b32 s0, exec_lo
	v_cmpx_gt_i32_e64 s1, v4
	s_cbranch_execz .LBB8_61
; %bb.1:
	s_load_dwordx16 s[8:23], s[4:5], 0x28
	v_ashrrev_i32_e32 v5, 31, v4
	s_load_dwordx8 s[24:31], s[4:5], 0x70
	v_lshlrev_b64 v[0:1], 2, v[4:5]
	s_waitcnt lgkmcnt(0)
	v_add_co_u32 v2, vcc_lo, s10, v0
	v_add_co_ci_u32_e64 v3, null, s11, v1, vcc_lo
	v_mul_lo_u32 v10, s15, v4
	v_mul_lo_u32 v11, s14, v5
	;; [unrolled: 1-line block ×3, first 2 shown]
	global_load_dword v25, v[2:3], off
	s_clause 0x1
	s_load_dwordx4 s[36:39], s[4:5], 0x0
	s_load_dword s33, s[4:5], 0x10
	v_mad_u64_u32 v[2:3], null, s14, v4, 0
	v_mul_lo_u32 v14, s18, v5
	v_mad_u64_u32 v[6:7], null, s18, v4, 0
	v_mul_lo_u32 v15, s23, v4
	v_mul_lo_u32 v16, s22, v5
	v_mad_u64_u32 v[8:9], null, s22, v4, 0
	v_add3_u32 v3, v3, v11, v10
	v_add3_u32 v7, v7, v14, v13
	v_lshlrev_b64 v[2:3], 3, v[2:3]
	v_add3_u32 v9, v9, v16, v15
	v_lshlrev_b64 v[10:11], 2, v[6:7]
	s_waitcnt lgkmcnt(0)
	v_mul_lo_u32 v12, v4, s38
	s_cmpk_eq_i32 s36, 0xe9
	v_lshlrev_b64 v[6:7], 2, v[8:9]
	v_add_co_u32 v28, vcc_lo, s12, v2
	v_add_co_ci_u32_e64 v29, null, s13, v3, vcc_lo
	v_add_co_u32 v30, vcc_lo, s16, v10
	v_ashrrev_i32_e32 v13, 31, v12
	v_add_co_ci_u32_e64 v31, null, s17, v11, vcc_lo
	v_add_co_u32 v27, vcc_lo, s20, v6
	v_lshlrev_b64 v[8:9], 2, v[12:13]
	v_add_co_ci_u32_e64 v33, null, s21, v7, vcc_lo
	v_add_co_u32 v26, vcc_lo, s24, v8
	v_add_co_ci_u32_e64 v32, null, s25, v9, vcc_lo
	s_waitcnt vmcnt(0)
	v_cmp_gt_i32_e64 s0, 1, v25
	v_cmp_lt_i32_e32 vcc_lo, 0, v25
	s_cbranch_scc1 .LBB8_12
; %bb.2:
	v_mov_b32_e32 v8, 0
	s_and_saveexec_b32 s10, vcc_lo
	s_cbranch_execz .LBB8_14
; %bb.3:
	v_add_co_u32 v20, vcc_lo, s12, v2
	v_add_co_ci_u32_e64 v21, null, s13, v3, vcc_lo
	v_add_co_u32 v22, vcc_lo, s16, v10
	v_add_co_ci_u32_e64 v23, null, s17, v11, vcc_lo
	v_mov_b32_e32 v8, 0
	s_mov_b32 s3, 0
	s_mov_b32 s11, 0
	;; [unrolled: 1-line block ×3, first 2 shown]
	s_branch .LBB8_5
.LBB8_4:                                ;   in Loop: Header=BB8_5 Depth=1
	s_or_b32 exec_lo, exec_lo, s6
	s_add_i32 s2, s2, 1
	v_cmp_eq_u32_e32 vcc_lo, s2, v25
	s_or_b32 s11, vcc_lo, s11
	s_andn2_b32 exec_lo, exec_lo, s11
	s_cbranch_execz .LBB8_13
.LBB8_5:                                ; =>This Loop Header: Depth=1
                                        ;     Child Loop BB8_10 Depth 2
	s_cmp_eq_u32 s2, 0
	s_cbranch_scc1 .LBB8_7
; %bb.6:                                ;   in Loop: Header=BB8_5 Depth=1
	s_lshl_b64 s[6:7], s[2:3], 2
	v_add_co_u32 v6, vcc_lo, v27, s6
	v_add_co_ci_u32_e64 v7, null, s7, v33, vcc_lo
	s_mov_b64 s[6:7], s[2:3]
	global_load_dword v12, v[6:7], off offset:-4
	s_branch .LBB8_8
.LBB8_7:                                ;   in Loop: Header=BB8_5 Depth=1
	v_mov_b32_e32 v12, 0
	s_mov_b64 s[6:7], 0
.LBB8_8:                                ;   in Loop: Header=BB8_5 Depth=1
	s_lshl_b64 s[6:7], s[6:7], 2
	v_add_co_u32 v6, vcc_lo, v26, s6
	v_add_co_ci_u32_e64 v7, null, s7, v32, vcc_lo
	s_mov_b32 s6, exec_lo
	global_load_dword v9, v[6:7], off
	s_waitcnt vmcnt(0)
	v_cmpx_lt_i32_e32 0, v9
	s_cbranch_execz .LBB8_4
; %bb.9:                                ;   in Loop: Header=BB8_5 Depth=1
	v_ashrrev_i32_e32 v13, 31, v12
	v_ashrrev_i32_e32 v9, 31, v8
	s_mov_b32 s7, 0
	s_mov_b32 s14, 0
	v_lshlrev_b64 v[14:15], 3, v[12:13]
	v_lshlrev_b64 v[16:17], 2, v[12:13]
	;; [unrolled: 1-line block ×4, first 2 shown]
	v_add_co_u32 v12, vcc_lo, v20, v14
	v_add_co_ci_u32_e64 v13, null, v21, v15, vcc_lo
	v_add_co_u32 v14, vcc_lo, v22, v16
	v_add_co_ci_u32_e64 v15, null, v23, v17, vcc_lo
	;; [unrolled: 2-line block ×4, first 2 shown]
	.p2align	6
.LBB8_10:                               ;   Parent Loop BB8_5 Depth=1
                                        ; =>  This Inner Loop Header: Depth=2
	global_load_dword v9, v[14:15], off
	s_add_i32 s14, s14, 1
	s_waitcnt vmcnt(0)
	global_store_dword v[18:19], v9, off
	global_load_dword v24, v[6:7], off
	global_load_dwordx2 v[34:35], v[12:13], off
	v_add_co_u32 v12, vcc_lo, v12, 8
	v_add_co_ci_u32_e64 v13, null, 0, v13, vcc_lo
	v_add_co_u32 v14, vcc_lo, v14, 4
	v_add_co_ci_u32_e64 v15, null, 0, v15, vcc_lo
	v_add_co_u32 v18, s1, v18, 4
	v_add_nc_u32_e32 v9, s14, v8
	v_add_co_ci_u32_e64 v19, null, 0, v19, s1
	s_waitcnt vmcnt(0)
	global_store_dwordx2 v[16:17], v[34:35], off
	v_add_co_u32 v16, vcc_lo, v16, 8
	v_add_co_ci_u32_e64 v17, null, 0, v17, vcc_lo
	v_cmp_ge_i32_e32 vcc_lo, s14, v24
	s_or_b32 s7, vcc_lo, s7
	s_andn2_b32 exec_lo, exec_lo, s7
	s_cbranch_execnz .LBB8_10
; %bb.11:                               ;   in Loop: Header=BB8_5 Depth=1
	s_or_b32 exec_lo, exec_lo, s7
	v_mov_b32_e32 v8, v9
	s_branch .LBB8_4
.LBB8_12:
                                        ; implicit-def: $vgpr8
	s_branch .LBB8_15
.LBB8_13:
	s_or_b32 exec_lo, exec_lo, s11
.LBB8_14:
	s_or_b32 exec_lo, exec_lo, s10
	s_cbranch_execnz .LBB8_53
.LBB8_15:
	v_lshlrev_b64 v[5:6], 3, v[4:5]
	s_load_dwordx4 s[20:23], s[4:5], 0x90
	v_lshlrev_b32_e32 v12, 1, v4
                                        ; implicit-def: $sgpr2_sgpr3
	v_add_co_u32 v5, vcc_lo, s26, v5
	v_add_co_ci_u32_e64 v6, null, s27, v6, vcc_lo
	v_mul_lo_u32 v8, v12, s38
	global_load_dwordx2 v[5:6], v[5:6], off
	v_ashrrev_i32_e32 v9, 31, v8
	s_and_saveexec_b32 s1, s0
	s_xor_b32 s0, exec_lo, s1
; %bb.16:
	s_ashr_i32 s3, s38, 31
	s_mov_b32 s2, s38
                                        ; implicit-def: $vgpr25
                                        ; implicit-def: $vgpr26
                                        ; implicit-def: $vgpr32
                                        ; implicit-def: $vgpr27
                                        ; implicit-def: $vgpr33
                                        ; implicit-def: $vgpr10_vgpr11
; %bb.17:
	s_or_saveexec_b32 s14, s0
	v_lshlrev_b64 v[13:14], 3, v[8:9]
	v_lshlrev_b64 v[15:16], 2, v[8:9]
	v_mov_b32_e32 v9, s3
	v_mov_b32_e32 v7, 0
	v_mov_b32_e32 v8, s2
	s_xor_b32 exec_lo, exec_lo, s14
	s_cbranch_execz .LBB8_28
; %bb.18:
	v_add_co_u32 v34, vcc_lo, s12, v2
	v_add_co_ci_u32_e64 v35, null, s13, v3, vcc_lo
	v_add_co_u32 v36, vcc_lo, s16, v10
	v_add_co_ci_u32_e64 v11, null, s17, v11, vcc_lo
	s_waitcnt lgkmcnt(0)
	v_add_co_u32 v37, vcc_lo, s20, v13
	v_add_co_ci_u32_e64 v38, null, s21, v14, vcc_lo
	v_add_co_u32 v39, vcc_lo, s22, v15
	v_add_co_ci_u32_e64 v40, null, s23, v16, vcc_lo
	v_mov_b32_e32 v7, 0
	s_ashr_i32 s3, s38, 31
	s_mov_b32 s2, s38
	s_mov_b32 s11, 0
	s_lshl_b64 s[6:7], s[2:3], 3
	s_mov_b32 s15, 0
	s_mov_b32 s10, s11
	s_branch .LBB8_20
.LBB8_19:                               ;   in Loop: Header=BB8_20 Depth=1
	s_or_b32 exec_lo, exec_lo, s1
	s_add_i32 s10, s10, 1
	v_cmp_eq_u32_e32 vcc_lo, s10, v25
	s_or_b32 s15, vcc_lo, s15
	s_andn2_b32 exec_lo, exec_lo, s15
	s_cbranch_execz .LBB8_27
.LBB8_20:                               ; =>This Loop Header: Depth=1
                                        ;     Child Loop BB8_25 Depth 2
	s_cmp_eq_u32 s10, 0
	s_cbranch_scc1 .LBB8_22
; %bb.21:                               ;   in Loop: Header=BB8_20 Depth=1
	s_lshl_b64 s[0:1], s[10:11], 2
	v_add_co_u32 v8, vcc_lo, v27, s0
	v_add_co_ci_u32_e64 v9, null, s1, v33, vcc_lo
	s_mov_b64 s[0:1], s[10:11]
	global_load_dword v17, v[8:9], off offset:-4
	s_branch .LBB8_23
.LBB8_22:                               ;   in Loop: Header=BB8_20 Depth=1
	v_mov_b32_e32 v17, 0
	s_mov_b64 s[0:1], 0
.LBB8_23:                               ;   in Loop: Header=BB8_20 Depth=1
	s_lshl_b64 s[0:1], s[0:1], 2
	v_add_co_u32 v9, vcc_lo, v26, s0
	v_add_co_ci_u32_e64 v10, null, s1, v32, vcc_lo
	s_mov_b32 s1, exec_lo
	global_load_dword v8, v[9:10], off
	s_waitcnt vmcnt(0)
	v_cmpx_lt_i32_e32 0, v8
	s_cbranch_execz .LBB8_19
; %bb.24:                               ;   in Loop: Header=BB8_20 Depth=1
	v_ashrrev_i32_e32 v18, 31, v17
	v_ashrrev_i32_e32 v8, 31, v7
	s_mov_b32 s18, 0
	s_mov_b32 s19, 0
	v_lshlrev_b64 v[19:20], 3, v[17:18]
	v_lshlrev_b64 v[21:22], 2, v[17:18]
	;; [unrolled: 1-line block ×4, first 2 shown]
	v_add_co_u32 v17, vcc_lo, v34, v19
	v_add_co_ci_u32_e64 v18, null, v35, v20, vcc_lo
	v_add_co_u32 v19, vcc_lo, v36, v21
	v_add_co_ci_u32_e64 v20, null, v11, v22, vcc_lo
	;; [unrolled: 2-line block ×4, first 2 shown]
	s_inst_prefetch 0x1
	.p2align	6
.LBB8_25:                               ;   Parent Loop BB8_20 Depth=1
                                        ; =>  This Inner Loop Header: Depth=2
	global_load_dword v8, v[19:20], off
	v_add_co_u32 v43, vcc_lo, v21, s6
	v_add_co_ci_u32_e64 v44, null, s7, v22, vcc_lo
	s_add_i32 s19, s19, 1
	s_waitcnt vmcnt(0)
	global_store_dword v[23:24], v8, off
	global_load_dword v45, v[9:10], off
	global_load_dwordx2 v[41:42], v[17:18], off
	v_add_co_u32 v17, vcc_lo, v17, 8
	v_add_co_ci_u32_e64 v18, null, 0, v18, vcc_lo
	v_add_co_u32 v19, vcc_lo, v19, 4
	v_add_co_ci_u32_e64 v20, null, 0, v20, vcc_lo
	v_add_co_u32 v23, s0, v23, 4
	v_add_nc_u32_e32 v8, s19, v7
	v_add_co_ci_u32_e64 v24, null, 0, v24, s0
	s_waitcnt vmcnt(0)
	global_store_dwordx2 v[21:22], v[41:42], off
	v_add_co_u32 v21, vcc_lo, v21, 8
	v_add_co_ci_u32_e64 v22, null, 0, v22, vcc_lo
	v_cmp_ge_i32_e32 vcc_lo, s19, v45
	global_store_dwordx2 v[43:44], v[41:42], off
	s_or_b32 s18, vcc_lo, s18
	s_andn2_b32 exec_lo, exec_lo, s18
	s_cbranch_execnz .LBB8_25
; %bb.26:                               ;   in Loop: Header=BB8_20 Depth=1
	s_inst_prefetch 0x2
	s_or_b32 exec_lo, exec_lo, s18
	v_mov_b32_e32 v7, v8
	s_branch .LBB8_19
.LBB8_27:
	s_or_b32 exec_lo, exec_lo, s15
	v_mov_b32_e32 v9, s3
	v_mov_b32_e32 v8, s2
.LBB8_28:
	s_or_b32 exec_lo, exec_lo, s14
; %bb.29:
	v_lshlrev_b64 v[17:18], 3, v[8:9]
	s_waitcnt lgkmcnt(0)
	v_add_co_u32 v32, vcc_lo, s20, v13
	v_add_co_ci_u32_e64 v33, null, s21, v14, vcc_lo
	v_add_co_u32 v34, vcc_lo, s22, v15
	v_add_co_ci_u32_e64 v35, null, s23, v16, vcc_lo
	;; [unrolled: 2-line block ×3, first 2 shown]
	s_mov_b32 s2, 1
	s_mov_b32 s6, exec_lo
	v_cmpx_lt_i32_e32 1, v7
	s_cbranch_execz .LBB8_37
; %bb.30:
	v_lshlrev_b64 v[8:9], 2, v[8:9]
	v_add_co_u32 v13, vcc_lo, v17, v13
	v_add_co_ci_u32_e64 v14, null, v18, v14, vcc_lo
	s_cmp_lg_u64 s[22:23], 0
	v_add_co_u32 v23, vcc_lo, v34, v8
	v_add_co_ci_u32_e64 v24, null, v35, v9, vcc_lo
	v_add_co_u32 v8, vcc_lo, s20, v13
	v_add_co_ci_u32_e64 v9, null, s21, v14, vcc_lo
	s_cselect_b32 s7, -1, 0
	v_add_co_u32 v8, vcc_lo, v8, 8
	v_add_co_ci_u32_e64 v9, null, 0, v9, vcc_lo
	s_mov_b32 s10, 0
	s_branch .LBB8_32
.LBB8_31:                               ;   in Loop: Header=BB8_32 Depth=1
	s_or_b32 exec_lo, exec_lo, s0
	s_add_i32 s2, s2, 1
	v_add_co_u32 v8, s0, v8, 8
	v_cmp_eq_u32_e32 vcc_lo, s2, v7
	v_add_co_ci_u32_e64 v9, null, 0, v9, s0
	s_or_b32 s10, vcc_lo, s10
	s_andn2_b32 exec_lo, exec_lo, s10
	s_cbranch_execz .LBB8_37
.LBB8_32:                               ; =>This Loop Header: Depth=1
                                        ;     Child Loop BB8_33 Depth 2
	s_ashr_i32 s3, s2, 31
	s_add_i32 s11, s2, -1
	s_lshl_b64 s[0:1], s[2:3], 3
	v_mov_b32_e32 v22, v9
	v_add_co_u32 v15, vcc_lo, v10, s0
	v_add_co_ci_u32_e64 v16, null, s1, v11, vcc_lo
	v_mov_b32_e32 v13, s11
	v_mov_b32_e32 v21, v8
	s_mov_b32 s14, 0
	global_load_dwordx2 v[17:18], v[15:16], off offset:-8
	s_mov_b32 s15, s2
	s_waitcnt vmcnt(0)
	v_mov_b32_e32 v20, v18
	v_mov_b32_e32 v19, v17
	.p2align	6
.LBB8_33:                               ;   Parent Loop BB8_32 Depth=1
                                        ; =>  This Inner Loop Header: Depth=2
	global_load_dwordx2 v[25:26], v[21:22], off
	v_add_co_u32 v21, s0, v21, 8
	v_add_co_ci_u32_e64 v22, null, 0, v22, s0
	s_waitcnt vmcnt(0)
	v_cmp_lt_f64_e32 vcc_lo, v[25:26], v[19:20]
	v_cndmask_b32_e64 v13, v13, s15, vcc_lo
	s_add_i32 s15, s15, 1
	v_cndmask_b32_e32 v20, v20, v26, vcc_lo
	v_cmp_eq_u32_e64 s1, s15, v7
	v_cndmask_b32_e32 v19, v19, v25, vcc_lo
	s_or_b32 s14, s1, s14
	s_andn2_b32 exec_lo, exec_lo, s14
	s_cbranch_execnz .LBB8_33
; %bb.34:                               ;   in Loop: Header=BB8_32 Depth=1
	s_or_b32 exec_lo, exec_lo, s14
	s_mov_b32 s0, exec_lo
	v_cmpx_ne_u32_e64 s11, v13
	s_cbranch_execz .LBB8_31
; %bb.35:                               ;   in Loop: Header=BB8_32 Depth=1
	v_ashrrev_i32_e32 v14, 31, v13
	v_lshlrev_b64 v[21:22], 3, v[13:14]
	v_add_co_u32 v21, vcc_lo, v10, v21
	v_add_co_ci_u32_e64 v22, null, v11, v22, vcc_lo
	s_andn2_b32 vcc_lo, exec_lo, s7
	global_store_dwordx2 v[21:22], v[17:18], off
	global_store_dwordx2 v[15:16], v[19:20], off offset:-8
	s_cbranch_vccnz .LBB8_31
; %bb.36:                               ;   in Loop: Header=BB8_32 Depth=1
	v_lshlrev_b64 v[13:14], 2, v[13:14]
	s_lshl_b64 s[14:15], s[2:3], 2
	v_add_co_u32 v15, vcc_lo, v23, s14
	v_add_co_ci_u32_e64 v16, null, s15, v24, vcc_lo
	v_add_co_u32 v13, vcc_lo, v23, v13
	v_add_co_ci_u32_e64 v14, null, v24, v14, vcc_lo
	s_clause 0x1
	global_load_dword v17, v[15:16], off offset:-4
	global_load_dword v18, v[13:14], off
	s_waitcnt vmcnt(1)
	global_store_dword v[13:14], v17, off
	s_waitcnt vmcnt(0)
	global_store_dword v[15:16], v18, off offset:-4
	s_branch .LBB8_31
.LBB8_37:
	s_or_b32 exec_lo, exec_lo, s6
	v_mov_b32_e32 v8, 0
	s_mov_b32 s6, exec_lo
	v_cmpx_lt_i32_e32 0, v7
	s_cbranch_execz .LBB8_52
; %bb.38:
	s_load_dwordx4 s[0:3], s[4:5], 0x18
	s_add_i32 s4, s38, -1
	v_ashrrev_i32_e32 v13, 31, v12
	v_mul_lo_u32 v8, v4, s4
	v_add_nc_u32_e32 v36, -1, v7
	s_waitcnt vmcnt(0)
	v_xor_b32_e32 v38, 0x80000000, v6
	v_lshlrev_b64 v[12:13], 3, v[12:13]
	v_ashrrev_i32_e32 v9, 31, v8
	v_lshlrev_b64 v[8:9], 3, v[8:9]
	s_waitcnt lgkmcnt(0)
	v_mad_i64_i32 v[14:15], null, v4, s3, 0
	s_ashr_i32 s11, s2, 31
	s_mov_b32 s10, s2
	v_add_co_u32 v4, vcc_lo, s30, v12
	s_lshl_b64 s[2:3], s[10:11], 3
	v_add_co_ci_u32_e64 v37, null, s31, v13, vcc_lo
	v_lshlrev_b64 v[14:15], 3, v[14:15]
	s_cmp_gt_i32 s38, 1
	v_add_co_u32 v12, vcc_lo, s28, v8
	v_add_co_ci_u32_e64 v13, null, s29, v9, vcc_lo
	s_cselect_b32 s5, -1, 0
	s_add_u32 s7, s0, s2
	v_add_co_u32 v8, vcc_lo, s0, v14
	s_addc_u32 s10, s1, s3
	v_add_co_ci_u32_e64 v9, null, s1, v15, vcc_lo
	v_add_co_u32 v16, vcc_lo, s7, v14
	v_add_co_ci_u32_e64 v17, null, s10, v15, vcc_lo
	v_add_co_u32 v14, vcc_lo, v8, s2
	;; [unrolled: 2-line block ×3, first 2 shown]
	v_add_co_ci_u32_e64 v17, null, 0, v17, vcc_lo
	v_mov_b32_e32 v8, 0
	s_mov_b32 s3, 0
	s_mov_b32 s1, 0
	;; [unrolled: 1-line block ×3, first 2 shown]
	s_branch .LBB8_41
.LBB8_39:                               ;   in Loop: Header=BB8_41 Depth=1
	s_or_b32 exec_lo, exec_lo, s0
.LBB8_40:                               ;   in Loop: Header=BB8_41 Depth=1
	s_or_b32 exec_lo, exec_lo, s7
	s_add_i32 s2, s2, 1
	v_cmp_eq_u32_e32 vcc_lo, s2, v7
	s_or_b32 s1, vcc_lo, s1
	s_andn2_b32 exec_lo, exec_lo, s1
	s_cbranch_execz .LBB8_51
.LBB8_41:                               ; =>This Loop Header: Depth=1
                                        ;     Child Loop BB8_43 Depth 2
                                        ;     Child Loop BB8_48 Depth 2
	s_lshl_b64 s[10:11], s[2:3], 3
	v_mov_b32_e32 v25, v11
	v_add_co_u32 v18, vcc_lo, v32, s10
	v_add_co_ci_u32_e64 v19, null, s11, v33, vcc_lo
	v_mov_b32_e32 v24, v10
	s_mov_b32 s7, s3
	s_mov_b32 s15, s3
	global_load_dwordx2 v[18:19], v[18:19], off
                                        ; implicit-def: $sgpr10
                                        ; implicit-def: $sgpr14
                                        ; implicit-def: $sgpr11
	s_inst_prefetch 0x1
	s_branch .LBB8_43
	.p2align	6
.LBB8_42:                               ;   in Loop: Header=BB8_43 Depth=2
	s_or_b32 exec_lo, exec_lo, s19
	s_and_b32 s0, exec_lo, s14
	v_mov_b32_e32 v9, s15
	s_or_b32 s7, s0, s7
	s_andn2_b32 s0, s10, exec_lo
	s_and_b32 s10, s11, exec_lo
	s_mov_b32 s15, s18
	s_or_b32 s10, s0, s10
	s_andn2_b32 exec_lo, exec_lo, s7
	s_cbranch_execz .LBB8_45
.LBB8_43:                               ;   Parent Loop BB8_41 Depth=1
                                        ; =>  This Inner Loop Header: Depth=2
	global_load_dwordx2 v[20:21], v[24:25], off
	v_mov_b32_e32 v22, v24
	v_mov_b32_e32 v23, v25
	s_or_b32 s11, s11, exec_lo
	s_or_b32 s14, s14, exec_lo
	s_mov_b32 s19, exec_lo
                                        ; implicit-def: $sgpr18
                                        ; implicit-def: $vgpr24_vgpr25
	s_waitcnt vmcnt(0)
	v_cmpx_neq_f64_e32 v[18:19], v[20:21]
	s_cbranch_execz .LBB8_42
; %bb.44:                               ;   in Loop: Header=BB8_43 Depth=2
	s_add_i32 s18, s15, 1
	v_add_co_u32 v24, s0, v22, 8
	v_cmp_eq_u32_e32 vcc_lo, s18, v7
	v_add_co_ci_u32_e64 v25, null, 0, v23, s0
	s_andn2_b32 s0, s14, exec_lo
	s_andn2_b32 s11, s11, exec_lo
	s_and_b32 s14, vcc_lo, exec_lo
	s_or_b32 s14, s0, s14
	s_branch .LBB8_42
.LBB8_45:                               ;   in Loop: Header=BB8_41 Depth=1
	s_inst_prefetch 0x2
	s_or_b32 exec_lo, exec_lo, s7
	s_and_saveexec_b32 s0, s10
	s_xor_b32 s7, exec_lo, s0
	s_cbranch_execz .LBB8_40
; %bb.46:                               ;   in Loop: Header=BB8_41 Depth=1
	v_cmp_eq_u32_e32 vcc_lo, v9, v36
	v_cndmask_b32_e32 v23, v23, v37, vcc_lo
	v_cndmask_b32_e32 v22, v22, v4, vcc_lo
	s_andn2_b32 vcc_lo, exec_lo, s5
	global_load_dwordx2 v[22:23], v[22:23], off offset:8
	global_load_dwordx2 v[24:25], v[14:15], off
	s_waitcnt vmcnt(1)
	v_add_f64 v[20:21], v[22:23], -v[20:21]
	v_fma_f64 v[20:21], v[20:21], 0.5, v[18:19]
	s_waitcnt vmcnt(0)
	v_add_f64 v[24:25], v[24:25], -v[20:21]
	v_cmp_le_f64_e64 s0, v[24:25], v[5:6]
	v_cndmask_b32_e64 v9, 0, 1, s0
	s_cbranch_vccnz .LBB8_49
; %bb.47:                               ;   in Loop: Header=BB8_41 Depth=1
	v_cmp_gt_f64_e64 s10, v[24:25], -v[5:6]
	v_mov_b32_e32 v23, v13
	v_mov_b32_e32 v22, v12
	s_and_b32 vcc_lo, s0, s10
	s_mov_b32 s10, s4
	v_cndmask_b32_e32 v27, v25, v38, vcc_lo
	v_cndmask_b32_e32 v26, v24, v5, vcc_lo
	v_mov_b32_e32 v25, v17
	v_mov_b32_e32 v24, v16
	s_inst_prefetch 0x1
	.p2align	6
.LBB8_48:                               ;   Parent Loop BB8_41 Depth=1
                                        ; =>  This Inner Loop Header: Depth=2
	global_load_dwordx2 v[39:40], v[22:23], off
	global_load_dwordx2 v[41:42], v[24:25], off
	v_add_co_u32 v24, s0, v24, 8
	v_add_co_ci_u32_e64 v25, null, 0, v25, s0
	v_add_co_u32 v22, s0, v22, 8
	v_add_co_ci_u32_e64 v23, null, 0, v23, s0
	s_add_i32 s10, s10, -1
	s_waitcnt vmcnt(1)
	v_div_scale_f64 v[43:44], null, v[26:27], v[26:27], v[39:40]
	v_div_scale_f64 v[49:50], vcc_lo, v[39:40], v[26:27], v[39:40]
	s_waitcnt vmcnt(0)
	v_add_f64 v[41:42], v[41:42], -v[20:21]
	v_rcp_f64_e32 v[45:46], v[43:44]
	v_fma_f64 v[47:48], -v[43:44], v[45:46], 1.0
	v_fma_f64 v[45:46], v[45:46], v[47:48], v[45:46]
	v_fma_f64 v[47:48], -v[43:44], v[45:46], 1.0
	v_fma_f64 v[45:46], v[45:46], v[47:48], v[45:46]
	v_mul_f64 v[47:48], v[49:50], v[45:46]
	v_fma_f64 v[43:44], -v[43:44], v[47:48], v[49:50]
	v_div_fmas_f64 v[43:44], v[43:44], v[45:46], v[47:48]
	v_div_fixup_f64 v[26:27], v[43:44], v[26:27], v[39:40]
	v_add_f64 v[26:27], v[41:42], -v[26:27]
	v_cmp_le_f64_e32 vcc_lo, v[26:27], v[5:6]
	v_cmp_gt_f64_e64 s11, v[26:27], -v[5:6]
	v_add_co_ci_u32_e64 v9, null, 0, v9, vcc_lo
	s_and_b32 vcc_lo, vcc_lo, s11
	s_cmp_lg_u32 s10, 0
	v_cndmask_b32_e32 v27, v27, v38, vcc_lo
	v_cndmask_b32_e32 v26, v26, v5, vcc_lo
	s_cbranch_scc1 .LBB8_48
.LBB8_49:                               ;   in Loop: Header=BB8_41 Depth=1
	s_inst_prefetch 0x2
	v_cmp_le_i32_e32 vcc_lo, s39, v9
	v_cmp_ge_i32_e64 s0, s33, v9
	s_and_b32 s10, vcc_lo, s0
	s_and_saveexec_b32 s0, s10
	s_cbranch_execz .LBB8_39
; %bb.50:                               ;   in Loop: Header=BB8_41 Depth=1
	s_lshl_b64 s[10:11], s[2:3], 2
	v_ashrrev_i32_e32 v9, 31, v8
	v_add_co_u32 v20, vcc_lo, v34, s10
	v_add_co_ci_u32_e64 v21, null, s11, v35, vcc_lo
	v_lshlrev_b64 v[22:23], 2, v[8:9]
	global_load_dword v24, v[20:21], off
	v_lshlrev_b64 v[20:21], 3, v[8:9]
	v_add_nc_u32_e32 v8, 1, v8
	v_add_co_u32 v20, vcc_lo, v28, v20
	v_add_co_ci_u32_e64 v21, null, v29, v21, vcc_lo
	v_add_co_u32 v22, vcc_lo, v30, v22
	v_add_co_ci_u32_e64 v23, null, v31, v23, vcc_lo
	global_store_dwordx2 v[20:21], v[18:19], off
	s_waitcnt vmcnt(0)
	global_store_dword v[22:23], v24, off
	s_branch .LBB8_39
.LBB8_51:
	s_or_b32 exec_lo, exec_lo, s1
.LBB8_52:
	s_or_b32 exec_lo, exec_lo, s6
.LBB8_53:
	v_add_co_u32 v0, vcc_lo, s8, v0
	v_add_co_ci_u32_e64 v1, null, s9, v1, vcc_lo
	v_cmp_lt_i32_e32 vcc_lo, 1, v8
	s_cmpk_eq_i32 s37, 0xf2
	s_mov_b32 s2, 1
	s_cselect_b32 s0, -1, 0
	global_store_dword v[0:1], v8, off
	s_and_b32 s0, s0, vcc_lo
	s_and_b32 exec_lo, exec_lo, s0
	s_cbranch_execz .LBB8_61
; %bb.54:
	v_add_co_u32 v0, vcc_lo, s12, v2
	v_add_co_ci_u32_e64 v1, null, s13, v3, vcc_lo
	s_cmp_lg_u64 s[16:17], 0
	v_add_co_u32 v0, vcc_lo, v0, 8
	v_add_co_ci_u32_e64 v1, null, 0, v1, vcc_lo
	s_cselect_b32 s4, -1, 0
	s_mov_b32 s5, 0
	s_branch .LBB8_56
.LBB8_55:                               ;   in Loop: Header=BB8_56 Depth=1
	s_or_b32 exec_lo, exec_lo, s0
	s_add_i32 s2, s2, 1
	v_add_co_u32 v0, s0, v0, 8
	v_cmp_eq_u32_e32 vcc_lo, s2, v8
	v_add_co_ci_u32_e64 v1, null, 0, v1, s0
	s_or_b32 s5, vcc_lo, s5
	s_andn2_b32 exec_lo, exec_lo, s5
	s_cbranch_execz .LBB8_61
.LBB8_56:                               ; =>This Loop Header: Depth=1
                                        ;     Child Loop BB8_57 Depth 2
	s_ashr_i32 s3, s2, 31
	s_add_i32 s6, s2, -1
	s_lshl_b64 s[0:1], s[2:3], 3
	v_mov_b32_e32 v12, v1
	v_add_co_u32 v4, vcc_lo, v28, s0
	s_waitcnt vmcnt(0)
	v_add_co_ci_u32_e64 v5, null, s1, v29, vcc_lo
	v_mov_b32_e32 v2, s6
	v_mov_b32_e32 v11, v0
	s_mov_b32 s7, 0
	global_load_dwordx2 v[6:7], v[4:5], off offset:-8
	s_mov_b32 s8, s2
	s_waitcnt vmcnt(0)
	v_mov_b32_e32 v10, v7
	v_mov_b32_e32 v9, v6
	.p2align	6
.LBB8_57:                               ;   Parent Loop BB8_56 Depth=1
                                        ; =>  This Inner Loop Header: Depth=2
	global_load_dwordx2 v[13:14], v[11:12], off
	v_add_co_u32 v11, s0, v11, 8
	v_add_co_ci_u32_e64 v12, null, 0, v12, s0
	s_waitcnt vmcnt(0)
	v_cmp_lt_f64_e32 vcc_lo, v[13:14], v[9:10]
	v_cndmask_b32_e64 v2, v2, s8, vcc_lo
	s_add_i32 s8, s8, 1
	v_cndmask_b32_e32 v10, v10, v14, vcc_lo
	v_cmp_eq_u32_e64 s1, s8, v8
	v_cndmask_b32_e32 v9, v9, v13, vcc_lo
	s_or_b32 s7, s1, s7
	s_andn2_b32 exec_lo, exec_lo, s7
	s_cbranch_execnz .LBB8_57
; %bb.58:                               ;   in Loop: Header=BB8_56 Depth=1
	s_or_b32 exec_lo, exec_lo, s7
	s_mov_b32 s0, exec_lo
	v_cmpx_ne_u32_e64 s6, v2
	s_cbranch_execz .LBB8_55
; %bb.59:                               ;   in Loop: Header=BB8_56 Depth=1
	v_ashrrev_i32_e32 v3, 31, v2
	v_lshlrev_b64 v[11:12], 3, v[2:3]
	v_add_co_u32 v11, vcc_lo, v28, v11
	v_add_co_ci_u32_e64 v12, null, v29, v12, vcc_lo
	s_andn2_b32 vcc_lo, exec_lo, s4
	global_store_dwordx2 v[11:12], v[6:7], off
	global_store_dwordx2 v[4:5], v[9:10], off offset:-8
	s_cbranch_vccnz .LBB8_55
; %bb.60:                               ;   in Loop: Header=BB8_56 Depth=1
	v_lshlrev_b64 v[2:3], 2, v[2:3]
	s_lshl_b64 s[6:7], s[2:3], 2
	v_add_co_u32 v4, vcc_lo, v30, s6
	v_add_co_ci_u32_e64 v5, null, s7, v31, vcc_lo
	v_add_co_u32 v2, vcc_lo, v30, v2
	v_add_co_ci_u32_e64 v3, null, v31, v3, vcc_lo
	s_clause 0x1
	global_load_dword v6, v[4:5], off offset:-4
	global_load_dword v7, v[2:3], off
	s_waitcnt vmcnt(1)
	global_store_dword v[2:3], v6, off
	s_waitcnt vmcnt(0)
	global_store_dword v[4:5], v7, off offset:-4
	s_branch .LBB8_55
.LBB8_61:
	s_endpgm
	.section	.rodata,"a",@progbits
	.p2align	6, 0x0
	.amdhsa_kernel _ZN9rocsolver6v33100L22stebz_synthesis_kernelIdPdEEv15rocblas_erange_15rocblas_eorder_iiiT0_iiPiS6_PT_lS6_lS6_liS6_S8_S8_S8_S8_S6_S7_
		.amdhsa_group_segment_fixed_size 0
		.amdhsa_private_segment_fixed_size 0
		.amdhsa_kernarg_size 424
		.amdhsa_user_sgpr_count 6
		.amdhsa_user_sgpr_private_segment_buffer 1
		.amdhsa_user_sgpr_dispatch_ptr 0
		.amdhsa_user_sgpr_queue_ptr 0
		.amdhsa_user_sgpr_kernarg_segment_ptr 1
		.amdhsa_user_sgpr_dispatch_id 0
		.amdhsa_user_sgpr_flat_scratch_init 0
		.amdhsa_user_sgpr_private_segment_size 0
		.amdhsa_wavefront_size32 1
		.amdhsa_uses_dynamic_stack 0
		.amdhsa_system_sgpr_private_segment_wavefront_offset 0
		.amdhsa_system_sgpr_workgroup_id_x 1
		.amdhsa_system_sgpr_workgroup_id_y 0
		.amdhsa_system_sgpr_workgroup_id_z 0
		.amdhsa_system_sgpr_workgroup_info 0
		.amdhsa_system_vgpr_workitem_id 0
		.amdhsa_next_free_vgpr 51
		.amdhsa_next_free_sgpr 40
		.amdhsa_reserve_vcc 1
		.amdhsa_reserve_flat_scratch 0
		.amdhsa_float_round_mode_32 0
		.amdhsa_float_round_mode_16_64 0
		.amdhsa_float_denorm_mode_32 3
		.amdhsa_float_denorm_mode_16_64 3
		.amdhsa_dx10_clamp 1
		.amdhsa_ieee_mode 1
		.amdhsa_fp16_overflow 0
		.amdhsa_workgroup_processor_mode 1
		.amdhsa_memory_ordered 1
		.amdhsa_forward_progress 1
		.amdhsa_shared_vgpr_count 0
		.amdhsa_exception_fp_ieee_invalid_op 0
		.amdhsa_exception_fp_denorm_src 0
		.amdhsa_exception_fp_ieee_div_zero 0
		.amdhsa_exception_fp_ieee_overflow 0
		.amdhsa_exception_fp_ieee_underflow 0
		.amdhsa_exception_fp_ieee_inexact 0
		.amdhsa_exception_int_div_zero 0
	.end_amdhsa_kernel
	.section	.text._ZN9rocsolver6v33100L22stebz_synthesis_kernelIdPdEEv15rocblas_erange_15rocblas_eorder_iiiT0_iiPiS6_PT_lS6_lS6_liS6_S8_S8_S8_S8_S6_S7_,"axG",@progbits,_ZN9rocsolver6v33100L22stebz_synthesis_kernelIdPdEEv15rocblas_erange_15rocblas_eorder_iiiT0_iiPiS6_PT_lS6_lS6_liS6_S8_S8_S8_S8_S6_S7_,comdat
.Lfunc_end8:
	.size	_ZN9rocsolver6v33100L22stebz_synthesis_kernelIdPdEEv15rocblas_erange_15rocblas_eorder_iiiT0_iiPiS6_PT_lS6_lS6_liS6_S8_S8_S8_S8_S6_S7_, .Lfunc_end8-_ZN9rocsolver6v33100L22stebz_synthesis_kernelIdPdEEv15rocblas_erange_15rocblas_eorder_iiiT0_iiPiS6_PT_lS6_lS6_liS6_S8_S8_S8_S8_S6_S7_
                                        ; -- End function
	.set _ZN9rocsolver6v33100L22stebz_synthesis_kernelIdPdEEv15rocblas_erange_15rocblas_eorder_iiiT0_iiPiS6_PT_lS6_lS6_liS6_S8_S8_S8_S8_S6_S7_.num_vgpr, 51
	.set _ZN9rocsolver6v33100L22stebz_synthesis_kernelIdPdEEv15rocblas_erange_15rocblas_eorder_iiiT0_iiPiS6_PT_lS6_lS6_liS6_S8_S8_S8_S8_S6_S7_.num_agpr, 0
	.set _ZN9rocsolver6v33100L22stebz_synthesis_kernelIdPdEEv15rocblas_erange_15rocblas_eorder_iiiT0_iiPiS6_PT_lS6_lS6_liS6_S8_S8_S8_S8_S6_S7_.numbered_sgpr, 40
	.set _ZN9rocsolver6v33100L22stebz_synthesis_kernelIdPdEEv15rocblas_erange_15rocblas_eorder_iiiT0_iiPiS6_PT_lS6_lS6_liS6_S8_S8_S8_S8_S6_S7_.num_named_barrier, 0
	.set _ZN9rocsolver6v33100L22stebz_synthesis_kernelIdPdEEv15rocblas_erange_15rocblas_eorder_iiiT0_iiPiS6_PT_lS6_lS6_liS6_S8_S8_S8_S8_S6_S7_.private_seg_size, 0
	.set _ZN9rocsolver6v33100L22stebz_synthesis_kernelIdPdEEv15rocblas_erange_15rocblas_eorder_iiiT0_iiPiS6_PT_lS6_lS6_liS6_S8_S8_S8_S8_S6_S7_.uses_vcc, 1
	.set _ZN9rocsolver6v33100L22stebz_synthesis_kernelIdPdEEv15rocblas_erange_15rocblas_eorder_iiiT0_iiPiS6_PT_lS6_lS6_liS6_S8_S8_S8_S8_S6_S7_.uses_flat_scratch, 0
	.set _ZN9rocsolver6v33100L22stebz_synthesis_kernelIdPdEEv15rocblas_erange_15rocblas_eorder_iiiT0_iiPiS6_PT_lS6_lS6_liS6_S8_S8_S8_S8_S6_S7_.has_dyn_sized_stack, 0
	.set _ZN9rocsolver6v33100L22stebz_synthesis_kernelIdPdEEv15rocblas_erange_15rocblas_eorder_iiiT0_iiPiS6_PT_lS6_lS6_liS6_S8_S8_S8_S8_S6_S7_.has_recursion, 0
	.set _ZN9rocsolver6v33100L22stebz_synthesis_kernelIdPdEEv15rocblas_erange_15rocblas_eorder_iiiT0_iiPiS6_PT_lS6_lS6_liS6_S8_S8_S8_S8_S6_S7_.has_indirect_call, 0
	.section	.AMDGPU.csdata,"",@progbits
; Kernel info:
; codeLenInByte = 3568
; TotalNumSgprs: 42
; NumVgprs: 51
; ScratchSize: 0
; MemoryBound: 0
; FloatMode: 240
; IeeeMode: 1
; LDSByteSize: 0 bytes/workgroup (compile time only)
; SGPRBlocks: 0
; VGPRBlocks: 6
; NumSGPRsForWavesPerEU: 42
; NumVGPRsForWavesPerEU: 51
; Occupancy: 16
; WaveLimiterHint : 1
; COMPUTE_PGM_RSRC2:SCRATCH_EN: 0
; COMPUTE_PGM_RSRC2:USER_SGPR: 6
; COMPUTE_PGM_RSRC2:TRAP_HANDLER: 0
; COMPUTE_PGM_RSRC2:TGID_X_EN: 1
; COMPUTE_PGM_RSRC2:TGID_Y_EN: 0
; COMPUTE_PGM_RSRC2:TGID_Z_EN: 0
; COMPUTE_PGM_RSRC2:TIDIG_COMP_CNT: 0
	.section	.AMDGPU.gpr_maximums,"",@progbits
	.set amdgpu.max_num_vgpr, 0
	.set amdgpu.max_num_agpr, 0
	.set amdgpu.max_num_sgpr, 0
	.section	.AMDGPU.csdata,"",@progbits
	.type	__hip_cuid_beb4b9ff5d833d4f,@object ; @__hip_cuid_beb4b9ff5d833d4f
	.section	.bss,"aw",@nobits
	.globl	__hip_cuid_beb4b9ff5d833d4f
__hip_cuid_beb4b9ff5d833d4f:
	.byte	0                               ; 0x0
	.size	__hip_cuid_beb4b9ff5d833d4f, 1

	.ident	"AMD clang version 22.0.0git (https://github.com/RadeonOpenCompute/llvm-project roc-7.2.4 26084 f58b06dce1f9c15707c5f808fd002e18c2accf7e)"
	.section	".note.GNU-stack","",@progbits
	.addrsig
	.addrsig_sym __hip_cuid_beb4b9ff5d833d4f
	.amdgpu_metadata
---
amdhsa.kernels:
  - .args:
      - .address_space:  global
        .offset:         0
        .size:           8
        .value_kind:     global_buffer
      - .offset:         8
        .size:           4
        .value_kind:     by_value
      - .offset:         12
        .size:           4
        .value_kind:     by_value
      - .offset:         16
        .size:           4
        .value_kind:     by_value
      - .offset:         24
        .size:           4
        .value_kind:     hidden_block_count_x
      - .offset:         28
        .size:           4
        .value_kind:     hidden_block_count_y
      - .offset:         32
        .size:           4
        .value_kind:     hidden_block_count_z
      - .offset:         36
        .size:           2
        .value_kind:     hidden_group_size_x
      - .offset:         38
        .size:           2
        .value_kind:     hidden_group_size_y
      - .offset:         40
        .size:           2
        .value_kind:     hidden_group_size_z
      - .offset:         42
        .size:           2
        .value_kind:     hidden_remainder_x
      - .offset:         44
        .size:           2
        .value_kind:     hidden_remainder_y
      - .offset:         46
        .size:           2
        .value_kind:     hidden_remainder_z
      - .offset:         64
        .size:           8
        .value_kind:     hidden_global_offset_x
      - .offset:         72
        .size:           8
        .value_kind:     hidden_global_offset_y
      - .offset:         80
        .size:           8
        .value_kind:     hidden_global_offset_z
      - .offset:         88
        .size:           2
        .value_kind:     hidden_grid_dims
    .group_segment_fixed_size: 0
    .kernarg_segment_align: 8
    .kernarg_segment_size: 280
    .language:       OpenCL C
    .language_version:
      - 2
      - 0
    .max_flat_workgroup_size: 1024
    .name:           _ZN9rocsolver6v33100L10reset_infoIiiiEEvPT_T0_T1_S4_
    .private_segment_fixed_size: 0
    .sgpr_count:     10
    .sgpr_spill_count: 0
    .symbol:         _ZN9rocsolver6v33100L10reset_infoIiiiEEvPT_T0_T1_S4_.kd
    .uniform_work_group_size: 1
    .uses_dynamic_stack: false
    .vgpr_count:     5
    .vgpr_spill_count: 0
    .wavefront_size: 32
    .workgroup_processor_mode: 1
  - .args:
      - .offset:         0
        .size:           4
        .value_kind:     by_value
      - .offset:         4
        .size:           4
        .value_kind:     by_value
      - .offset:         8
        .size:           4
        .value_kind:     by_value
      - .address_space:  global
        .offset:         16
        .size:           8
        .value_kind:     global_buffer
      - .offset:         24
        .size:           4
        .value_kind:     by_value
      - .offset:         32
        .size:           8
        .value_kind:     by_value
      - .address_space:  global
        .offset:         40
        .size:           8
        .value_kind:     global_buffer
      - .address_space:  global
        .offset:         48
        .size:           8
        .value_kind:     global_buffer
      - .address_space:  global
        .offset:         56
        .size:           8
        .value_kind:     global_buffer
      - .offset:         64
        .size:           8
        .value_kind:     by_value
      - .address_space:  global
        .offset:         72
        .size:           8
        .value_kind:     global_buffer
      - .offset:         80
        .size:           8
        .value_kind:     by_value
      - .address_space:  global
        .offset:         88
        .size:           8
        .value_kind:     global_buffer
      - .offset:         96
        .size:           8
        .value_kind:     by_value
      - .offset:         104
        .size:           4
        .value_kind:     by_value
      - .offset:         112
        .size:           4
        .value_kind:     hidden_block_count_x
      - .offset:         116
        .size:           4
        .value_kind:     hidden_block_count_y
      - .offset:         120
        .size:           4
        .value_kind:     hidden_block_count_z
      - .offset:         124
        .size:           2
        .value_kind:     hidden_group_size_x
      - .offset:         126
        .size:           2
        .value_kind:     hidden_group_size_y
      - .offset:         128
        .size:           2
        .value_kind:     hidden_group_size_z
      - .offset:         130
        .size:           2
        .value_kind:     hidden_remainder_x
      - .offset:         132
        .size:           2
        .value_kind:     hidden_remainder_y
      - .offset:         134
        .size:           2
        .value_kind:     hidden_remainder_z
      - .offset:         152
        .size:           8
        .value_kind:     hidden_global_offset_x
      - .offset:         160
        .size:           8
        .value_kind:     hidden_global_offset_y
      - .offset:         168
        .size:           8
        .value_kind:     hidden_global_offset_z
      - .offset:         176
        .size:           2
        .value_kind:     hidden_grid_dims
    .group_segment_fixed_size: 0
    .kernarg_segment_align: 8
    .kernarg_segment_size: 368
    .language:       OpenCL C
    .language_version:
      - 2
      - 0
    .max_flat_workgroup_size: 1024
    .name:           _ZN9rocsolver6v33100L18stebz_case1_kernelIfPfEEv15rocblas_erange_T_S4_T0_ilPiS6_PS4_lS6_lS6_li
    .private_segment_fixed_size: 0
    .sgpr_count:     26
    .sgpr_spill_count: 0
    .symbol:         _ZN9rocsolver6v33100L18stebz_case1_kernelIfPfEEv15rocblas_erange_T_S4_T0_ilPiS6_PS4_lS6_lS6_li.kd
    .uniform_work_group_size: 1
    .uses_dynamic_stack: false
    .vgpr_count:     11
    .vgpr_spill_count: 0
    .wavefront_size: 32
    .workgroup_processor_mode: 1
  - .args:
      - .offset:         0
        .size:           4
        .value_kind:     by_value
      - .offset:         4
        .size:           4
        .value_kind:     by_value
      - .offset:         8
        .size:           4
        .value_kind:     by_value
      - .offset:         12
        .size:           4
        .value_kind:     by_value
      - .offset:         16
        .size:           4
        .value_kind:     by_value
      - .offset:         20
        .size:           4
        .value_kind:     by_value
      - .address_space:  global
        .offset:         24
        .size:           8
        .value_kind:     global_buffer
      - .offset:         32
        .size:           4
        .value_kind:     by_value
      - .offset:         36
        .size:           4
        .value_kind:     by_value
      - .address_space:  global
        .offset:         40
        .size:           8
        .value_kind:     global_buffer
      - .offset:         48
        .size:           4
        .value_kind:     by_value
      - .offset:         52
        .size:           4
        .value_kind:     by_value
      - .address_space:  global
        .offset:         56
        .size:           8
        .value_kind:     global_buffer
      - .address_space:  global
        .offset:         64
        .size:           8
        .value_kind:     global_buffer
      - .offset:         72
        .size:           8
        .value_kind:     by_value
      - .address_space:  global
        .offset:         80
        .size:           8
        .value_kind:     global_buffer
      - .offset:         88
        .size:           8
        .value_kind:     by_value
      - .address_space:  global
        .offset:         96
        .size:           8
        .value_kind:     global_buffer
      - .address_space:  global
        .offset:         104
        .size:           8
        .value_kind:     global_buffer
      - .address_space:  global
        .offset:         112
        .size:           8
        .value_kind:     global_buffer
      - .address_space:  global
        .offset:         120
        .size:           8
        .value_kind:     global_buffer
      - .address_space:  global
        .offset:         128
        .size:           8
        .value_kind:     global_buffer
      - .address_space:  global
        .offset:         136
        .size:           8
        .value_kind:     global_buffer
      - .offset:         144
        .size:           4
        .value_kind:     by_value
      - .offset:         148
        .size:           4
        .value_kind:     by_value
    .group_segment_fixed_size: 2048
    .kernarg_segment_align: 8
    .kernarg_segment_size: 152
    .language:       OpenCL C
    .language_version:
      - 2
      - 0
    .max_flat_workgroup_size: 256
    .name:           _ZN9rocsolver6v33100L22stebz_splitting_kernelIfPfEEv15rocblas_erange_iT_S4_iiT0_iiS5_iiPiPS4_lS6_lS6_S7_S7_S7_S7_S6_S4_S4_
    .private_segment_fixed_size: 0
    .sgpr_count:     50
    .sgpr_spill_count: 0
    .symbol:         _ZN9rocsolver6v33100L22stebz_splitting_kernelIfPfEEv15rocblas_erange_iT_S4_iiT0_iiS5_iiPiPS4_lS6_lS6_S7_S7_S7_S7_S6_S4_S4_.kd
    .uniform_work_group_size: 1
    .uses_dynamic_stack: false
    .vgpr_count:     21
    .vgpr_spill_count: 0
    .wavefront_size: 32
    .workgroup_processor_mode: 1
  - .args:
      - .offset:         0
        .size:           4
        .value_kind:     by_value
      - .offset:         4
        .size:           4
        .value_kind:     by_value
      - .offset:         8
        .size:           4
        .value_kind:     by_value
      - .address_space:  global
        .offset:         16
        .size:           8
        .value_kind:     global_buffer
      - .offset:         24
        .size:           4
        .value_kind:     by_value
      - .offset:         28
        .size:           4
        .value_kind:     by_value
      - .address_space:  global
        .offset:         32
        .size:           8
        .value_kind:     global_buffer
      - .offset:         40
        .size:           4
        .value_kind:     by_value
      - .offset:         44
        .size:           4
        .value_kind:     by_value
      - .address_space:  global
        .offset:         48
        .size:           8
        .value_kind:     global_buffer
      - .address_space:  global
        .offset:         56
        .size:           8
        .value_kind:     global_buffer
      - .offset:         64
        .size:           8
        .value_kind:     by_value
      - .address_space:  global
        .offset:         72
        .size:           8
        .value_kind:     global_buffer
      - .offset:         80
        .size:           8
        .value_kind:     by_value
      - .address_space:  global
        .offset:         88
        .size:           8
        .value_kind:     global_buffer
      - .offset:         96
        .size:           8
        .value_kind:     by_value
      - .address_space:  global
        .offset:         104
        .size:           8
        .value_kind:     global_buffer
      - .address_space:  global
        .offset:         112
        .size:           8
        .value_kind:     global_buffer
      - .address_space:  global
        .offset:         120
        .size:           8
        .value_kind:     global_buffer
      - .address_space:  global
        .offset:         128
        .size:           8
        .value_kind:     global_buffer
      - .address_space:  global
        .offset:         136
        .size:           8
        .value_kind:     global_buffer
      - .address_space:  global
        .offset:         144
        .size:           8
        .value_kind:     global_buffer
      - .address_space:  global
        .offset:         152
        .size:           8
        .value_kind:     global_buffer
      - .offset:         160
        .size:           4
        .value_kind:     by_value
      - .offset:         164
        .size:           4
        .value_kind:     by_value
    .group_segment_fixed_size: 4616
    .kernarg_segment_align: 8
    .kernarg_segment_size: 168
    .language:       OpenCL C
    .language_version:
      - 2
      - 0
    .max_flat_workgroup_size: 128
    .name:           _ZN9rocsolver6v33100L22stebz_bisection_kernelIfPfEEv15rocblas_erange_iT_T0_iiS5_iiPiPS4_lS6_lS6_lS6_S6_S7_S7_S7_S7_S6_S4_S4_
    .private_segment_fixed_size: 0
    .sgpr_count:     72
    .sgpr_spill_count: 0
    .symbol:         _ZN9rocsolver6v33100L22stebz_bisection_kernelIfPfEEv15rocblas_erange_iT_T0_iiS5_iiPiPS4_lS6_lS6_lS6_S6_S7_S7_S7_S7_S6_S4_S4_.kd
    .uniform_work_group_size: 1
    .uses_dynamic_stack: false
    .vgpr_count:     24
    .vgpr_spill_count: 0
    .wavefront_size: 32
    .workgroup_processor_mode: 1
  - .args:
      - .offset:         0
        .size:           4
        .value_kind:     by_value
      - .offset:         4
        .size:           4
        .value_kind:     by_value
      - .offset:         8
        .size:           4
        .value_kind:     by_value
      - .offset:         12
        .size:           4
        .value_kind:     by_value
      - .offset:         16
        .size:           4
        .value_kind:     by_value
      - .address_space:  global
        .offset:         24
        .size:           8
        .value_kind:     global_buffer
      - .offset:         32
        .size:           4
        .value_kind:     by_value
      - .offset:         36
        .size:           4
        .value_kind:     by_value
      - .address_space:  global
        .offset:         40
        .size:           8
        .value_kind:     global_buffer
      - .address_space:  global
        .offset:         48
        .size:           8
        .value_kind:     global_buffer
      - .address_space:  global
        .offset:         56
        .size:           8
        .value_kind:     global_buffer
      - .offset:         64
        .size:           8
        .value_kind:     by_value
      - .address_space:  global
        .offset:         72
        .size:           8
        .value_kind:     global_buffer
      - .offset:         80
        .size:           8
        .value_kind:     by_value
      - .address_space:  global
        .offset:         88
        .size:           8
        .value_kind:     global_buffer
      - .offset:         96
        .size:           8
        .value_kind:     by_value
      - .offset:         104
        .size:           4
        .value_kind:     by_value
      - .address_space:  global
        .offset:         112
        .size:           8
        .value_kind:     global_buffer
      - .address_space:  global
        .offset:         120
        .size:           8
        .value_kind:     global_buffer
      - .address_space:  global
        .offset:         128
        .size:           8
        .value_kind:     global_buffer
      - .address_space:  global
        .offset:         136
        .size:           8
        .value_kind:     global_buffer
      - .address_space:  global
        .offset:         144
        .size:           8
        .value_kind:     global_buffer
      - .address_space:  global
        .offset:         152
        .size:           8
        .value_kind:     global_buffer
      - .offset:         160
        .size:           4
        .value_kind:     by_value
      - .offset:         168
        .size:           4
        .value_kind:     hidden_block_count_x
      - .offset:         172
        .size:           4
        .value_kind:     hidden_block_count_y
      - .offset:         176
        .size:           4
        .value_kind:     hidden_block_count_z
      - .offset:         180
        .size:           2
        .value_kind:     hidden_group_size_x
      - .offset:         182
        .size:           2
        .value_kind:     hidden_group_size_y
      - .offset:         184
        .size:           2
        .value_kind:     hidden_group_size_z
      - .offset:         186
        .size:           2
        .value_kind:     hidden_remainder_x
      - .offset:         188
        .size:           2
        .value_kind:     hidden_remainder_y
      - .offset:         190
        .size:           2
        .value_kind:     hidden_remainder_z
      - .offset:         208
        .size:           8
        .value_kind:     hidden_global_offset_x
      - .offset:         216
        .size:           8
        .value_kind:     hidden_global_offset_y
      - .offset:         224
        .size:           8
        .value_kind:     hidden_global_offset_z
      - .offset:         232
        .size:           2
        .value_kind:     hidden_grid_dims
    .group_segment_fixed_size: 0
    .kernarg_segment_align: 8
    .kernarg_segment_size: 424
    .language:       OpenCL C
    .language_version:
      - 2
      - 0
    .max_flat_workgroup_size: 1024
    .name:           _ZN9rocsolver6v33100L22stebz_synthesis_kernelIfPfEEv15rocblas_erange_15rocblas_eorder_iiiT0_iiPiS6_PT_lS6_lS6_liS6_S8_S8_S8_S8_S6_S7_
    .private_segment_fixed_size: 0
    .sgpr_count:     42
    .sgpr_spill_count: 0
    .symbol:         _ZN9rocsolver6v33100L22stebz_synthesis_kernelIfPfEEv15rocblas_erange_15rocblas_eorder_iiiT0_iiPiS6_PT_lS6_lS6_liS6_S8_S8_S8_S8_S6_S7_.kd
    .uniform_work_group_size: 1
    .uses_dynamic_stack: false
    .vgpr_count:     42
    .vgpr_spill_count: 0
    .wavefront_size: 32
    .workgroup_processor_mode: 1
  - .args:
      - .offset:         0
        .size:           4
        .value_kind:     by_value
      - .offset:         8
        .size:           8
        .value_kind:     by_value
      - .offset:         16
        .size:           8
        .value_kind:     by_value
      - .address_space:  global
        .offset:         24
        .size:           8
        .value_kind:     global_buffer
      - .offset:         32
        .size:           4
        .value_kind:     by_value
      - .offset:         40
        .size:           8
        .value_kind:     by_value
      - .address_space:  global
        .offset:         48
        .size:           8
        .value_kind:     global_buffer
      - .address_space:  global
        .offset:         56
        .size:           8
        .value_kind:     global_buffer
      - .address_space:  global
        .offset:         64
        .size:           8
        .value_kind:     global_buffer
      - .offset:         72
        .size:           8
        .value_kind:     by_value
      - .address_space:  global
        .offset:         80
        .size:           8
        .value_kind:     global_buffer
      - .offset:         88
        .size:           8
        .value_kind:     by_value
      - .address_space:  global
        .offset:         96
        .size:           8
        .value_kind:     global_buffer
      - .offset:         104
        .size:           8
        .value_kind:     by_value
      - .offset:         112
        .size:           4
        .value_kind:     by_value
      - .offset:         120
        .size:           4
        .value_kind:     hidden_block_count_x
      - .offset:         124
        .size:           4
        .value_kind:     hidden_block_count_y
      - .offset:         128
        .size:           4
        .value_kind:     hidden_block_count_z
      - .offset:         132
        .size:           2
        .value_kind:     hidden_group_size_x
      - .offset:         134
        .size:           2
        .value_kind:     hidden_group_size_y
      - .offset:         136
        .size:           2
        .value_kind:     hidden_group_size_z
      - .offset:         138
        .size:           2
        .value_kind:     hidden_remainder_x
      - .offset:         140
        .size:           2
        .value_kind:     hidden_remainder_y
      - .offset:         142
        .size:           2
        .value_kind:     hidden_remainder_z
      - .offset:         160
        .size:           8
        .value_kind:     hidden_global_offset_x
      - .offset:         168
        .size:           8
        .value_kind:     hidden_global_offset_y
      - .offset:         176
        .size:           8
        .value_kind:     hidden_global_offset_z
      - .offset:         184
        .size:           2
        .value_kind:     hidden_grid_dims
    .group_segment_fixed_size: 0
    .kernarg_segment_align: 8
    .kernarg_segment_size: 376
    .language:       OpenCL C
    .language_version:
      - 2
      - 0
    .max_flat_workgroup_size: 1024
    .name:           _ZN9rocsolver6v33100L18stebz_case1_kernelIdPdEEv15rocblas_erange_T_S4_T0_ilPiS6_PS4_lS6_lS6_li
    .private_segment_fixed_size: 0
    .sgpr_count:     26
    .sgpr_spill_count: 0
    .symbol:         _ZN9rocsolver6v33100L18stebz_case1_kernelIdPdEEv15rocblas_erange_T_S4_T0_ilPiS6_PS4_lS6_lS6_li.kd
    .uniform_work_group_size: 1
    .uses_dynamic_stack: false
    .vgpr_count:     12
    .vgpr_spill_count: 0
    .wavefront_size: 32
    .workgroup_processor_mode: 1
  - .args:
      - .offset:         0
        .size:           4
        .value_kind:     by_value
      - .offset:         4
        .size:           4
        .value_kind:     by_value
      - .offset:         8
        .size:           8
        .value_kind:     by_value
      - .offset:         16
        .size:           8
        .value_kind:     by_value
      - .offset:         24
        .size:           4
        .value_kind:     by_value
      - .offset:         28
        .size:           4
        .value_kind:     by_value
      - .address_space:  global
        .offset:         32
        .size:           8
        .value_kind:     global_buffer
      - .offset:         40
        .size:           4
        .value_kind:     by_value
      - .offset:         44
        .size:           4
        .value_kind:     by_value
      - .address_space:  global
        .offset:         48
        .size:           8
        .value_kind:     global_buffer
      - .offset:         56
        .size:           4
        .value_kind:     by_value
      - .offset:         60
        .size:           4
        .value_kind:     by_value
      - .address_space:  global
        .offset:         64
        .size:           8
        .value_kind:     global_buffer
      - .address_space:  global
        .offset:         72
        .size:           8
        .value_kind:     global_buffer
      - .offset:         80
        .size:           8
        .value_kind:     by_value
      - .address_space:  global
        .offset:         88
        .size:           8
        .value_kind:     global_buffer
      - .offset:         96
        .size:           8
        .value_kind:     by_value
      - .address_space:  global
        .offset:         104
        .size:           8
        .value_kind:     global_buffer
      - .address_space:  global
        .offset:         112
        .size:           8
        .value_kind:     global_buffer
      - .address_space:  global
        .offset:         120
        .size:           8
        .value_kind:     global_buffer
      - .address_space:  global
        .offset:         128
        .size:           8
        .value_kind:     global_buffer
      - .address_space:  global
        .offset:         136
        .size:           8
        .value_kind:     global_buffer
      - .address_space:  global
        .offset:         144
        .size:           8
        .value_kind:     global_buffer
      - .offset:         152
        .size:           8
        .value_kind:     by_value
      - .offset:         160
        .size:           8
        .value_kind:     by_value
    .group_segment_fixed_size: 3072
    .kernarg_segment_align: 8
    .kernarg_segment_size: 168
    .language:       OpenCL C
    .language_version:
      - 2
      - 0
    .max_flat_workgroup_size: 256
    .name:           _ZN9rocsolver6v33100L22stebz_splitting_kernelIdPdEEv15rocblas_erange_iT_S4_iiT0_iiS5_iiPiPS4_lS6_lS6_S7_S7_S7_S7_S6_S4_S4_
    .private_segment_fixed_size: 0
    .sgpr_count:     56
    .sgpr_spill_count: 0
    .symbol:         _ZN9rocsolver6v33100L22stebz_splitting_kernelIdPdEEv15rocblas_erange_iT_S4_iiT0_iiS5_iiPiPS4_lS6_lS6_S7_S7_S7_S7_S6_S4_S4_.kd
    .uniform_work_group_size: 1
    .uses_dynamic_stack: false
    .vgpr_count:     26
    .vgpr_spill_count: 0
    .wavefront_size: 32
    .workgroup_processor_mode: 1
  - .args:
      - .offset:         0
        .size:           4
        .value_kind:     by_value
      - .offset:         4
        .size:           4
        .value_kind:     by_value
      - .offset:         8
        .size:           8
        .value_kind:     by_value
      - .address_space:  global
        .offset:         16
        .size:           8
        .value_kind:     global_buffer
      - .offset:         24
        .size:           4
        .value_kind:     by_value
      - .offset:         28
        .size:           4
        .value_kind:     by_value
      - .address_space:  global
        .offset:         32
        .size:           8
        .value_kind:     global_buffer
      - .offset:         40
        .size:           4
        .value_kind:     by_value
      - .offset:         44
        .size:           4
        .value_kind:     by_value
      - .address_space:  global
        .offset:         48
        .size:           8
        .value_kind:     global_buffer
      - .address_space:  global
        .offset:         56
        .size:           8
        .value_kind:     global_buffer
      - .offset:         64
        .size:           8
        .value_kind:     by_value
      - .address_space:  global
        .offset:         72
        .size:           8
        .value_kind:     global_buffer
      - .offset:         80
        .size:           8
        .value_kind:     by_value
      - .address_space:  global
        .offset:         88
        .size:           8
        .value_kind:     global_buffer
      - .offset:         96
        .size:           8
        .value_kind:     by_value
      - .address_space:  global
        .offset:         104
        .size:           8
        .value_kind:     global_buffer
      - .address_space:  global
        .offset:         112
        .size:           8
        .value_kind:     global_buffer
      - .address_space:  global
        .offset:         120
        .size:           8
        .value_kind:     global_buffer
      - .address_space:  global
        .offset:         128
        .size:           8
        .value_kind:     global_buffer
      - .address_space:  global
        .offset:         136
        .size:           8
        .value_kind:     global_buffer
      - .address_space:  global
        .offset:         144
        .size:           8
        .value_kind:     global_buffer
      - .address_space:  global
        .offset:         152
        .size:           8
        .value_kind:     global_buffer
      - .offset:         160
        .size:           8
        .value_kind:     by_value
      - .offset:         168
        .size:           8
        .value_kind:     by_value
    .group_segment_fixed_size: 6664
    .kernarg_segment_align: 8
    .kernarg_segment_size: 176
    .language:       OpenCL C
    .language_version:
      - 2
      - 0
    .max_flat_workgroup_size: 128
    .name:           _ZN9rocsolver6v33100L22stebz_bisection_kernelIdPdEEv15rocblas_erange_iT_T0_iiS5_iiPiPS4_lS6_lS6_lS6_S6_S7_S7_S7_S7_S6_S4_S4_
    .private_segment_fixed_size: 0
    .sgpr_count:     93
    .sgpr_spill_count: 0
    .symbol:         _ZN9rocsolver6v33100L22stebz_bisection_kernelIdPdEEv15rocblas_erange_iT_T0_iiS5_iiPiPS4_lS6_lS6_lS6_S6_S7_S7_S7_S7_S6_S4_S4_.kd
    .uniform_work_group_size: 1
    .uses_dynamic_stack: false
    .vgpr_count:     39
    .vgpr_spill_count: 0
    .wavefront_size: 32
    .workgroup_processor_mode: 1
  - .args:
      - .offset:         0
        .size:           4
        .value_kind:     by_value
      - .offset:         4
        .size:           4
        .value_kind:     by_value
      - .offset:         8
        .size:           4
        .value_kind:     by_value
      - .offset:         12
        .size:           4
        .value_kind:     by_value
      - .offset:         16
        .size:           4
        .value_kind:     by_value
      - .address_space:  global
        .offset:         24
        .size:           8
        .value_kind:     global_buffer
      - .offset:         32
        .size:           4
        .value_kind:     by_value
      - .offset:         36
        .size:           4
        .value_kind:     by_value
      - .address_space:  global
        .offset:         40
        .size:           8
        .value_kind:     global_buffer
      - .address_space:  global
        .offset:         48
        .size:           8
        .value_kind:     global_buffer
      - .address_space:  global
        .offset:         56
        .size:           8
        .value_kind:     global_buffer
      - .offset:         64
        .size:           8
        .value_kind:     by_value
      - .address_space:  global
        .offset:         72
        .size:           8
        .value_kind:     global_buffer
      - .offset:         80
        .size:           8
        .value_kind:     by_value
      - .address_space:  global
        .offset:         88
        .size:           8
        .value_kind:     global_buffer
      - .offset:         96
        .size:           8
        .value_kind:     by_value
      - .offset:         104
        .size:           4
        .value_kind:     by_value
      - .address_space:  global
        .offset:         112
        .size:           8
        .value_kind:     global_buffer
      - .address_space:  global
        .offset:         120
        .size:           8
        .value_kind:     global_buffer
      - .address_space:  global
        .offset:         128
        .size:           8
        .value_kind:     global_buffer
      - .address_space:  global
        .offset:         136
        .size:           8
        .value_kind:     global_buffer
      - .address_space:  global
        .offset:         144
        .size:           8
        .value_kind:     global_buffer
      - .address_space:  global
        .offset:         152
        .size:           8
        .value_kind:     global_buffer
      - .offset:         160
        .size:           8
        .value_kind:     by_value
      - .offset:         168
        .size:           4
        .value_kind:     hidden_block_count_x
      - .offset:         172
        .size:           4
        .value_kind:     hidden_block_count_y
      - .offset:         176
        .size:           4
        .value_kind:     hidden_block_count_z
      - .offset:         180
        .size:           2
        .value_kind:     hidden_group_size_x
      - .offset:         182
        .size:           2
        .value_kind:     hidden_group_size_y
      - .offset:         184
        .size:           2
        .value_kind:     hidden_group_size_z
      - .offset:         186
        .size:           2
        .value_kind:     hidden_remainder_x
      - .offset:         188
        .size:           2
        .value_kind:     hidden_remainder_y
      - .offset:         190
        .size:           2
        .value_kind:     hidden_remainder_z
      - .offset:         208
        .size:           8
        .value_kind:     hidden_global_offset_x
      - .offset:         216
        .size:           8
        .value_kind:     hidden_global_offset_y
      - .offset:         224
        .size:           8
        .value_kind:     hidden_global_offset_z
      - .offset:         232
        .size:           2
        .value_kind:     hidden_grid_dims
    .group_segment_fixed_size: 0
    .kernarg_segment_align: 8
    .kernarg_segment_size: 424
    .language:       OpenCL C
    .language_version:
      - 2
      - 0
    .max_flat_workgroup_size: 1024
    .name:           _ZN9rocsolver6v33100L22stebz_synthesis_kernelIdPdEEv15rocblas_erange_15rocblas_eorder_iiiT0_iiPiS6_PT_lS6_lS6_liS6_S8_S8_S8_S8_S6_S7_
    .private_segment_fixed_size: 0
    .sgpr_count:     42
    .sgpr_spill_count: 0
    .symbol:         _ZN9rocsolver6v33100L22stebz_synthesis_kernelIdPdEEv15rocblas_erange_15rocblas_eorder_iiiT0_iiPiS6_PT_lS6_lS6_liS6_S8_S8_S8_S8_S6_S7_.kd
    .uniform_work_group_size: 1
    .uses_dynamic_stack: false
    .vgpr_count:     51
    .vgpr_spill_count: 0
    .wavefront_size: 32
    .workgroup_processor_mode: 1
amdhsa.target:   amdgcn-amd-amdhsa--gfx1030
amdhsa.version:
  - 1
  - 2
...

	.end_amdgpu_metadata
